;; amdgpu-corpus repo=ggml-org/llama.cpp kind=compiled arch=gfx1250 opt=O3
	.amdgcn_target "amdgcn-amd-amdhsa--gfx1250"
	.amdhsa_code_object_version 6
	.section	.text._ZL13im2col_kernelI6__halfEvPKfPT_lllllllllllliiiiii,"axG",@progbits,_ZL13im2col_kernelI6__halfEvPKfPT_lllllllllllliiiiii,comdat
	.globl	_ZL13im2col_kernelI6__halfEvPKfPT_lllllllllllliiiiii ; -- Begin function _ZL13im2col_kernelI6__halfEvPKfPT_lllllllllllliiiiii
	.p2align	8
	.type	_ZL13im2col_kernelI6__halfEvPKfPT_lllllllllllliiiiii,@function
_ZL13im2col_kernelI6__halfEvPKfPT_lllllllllllliiiiii: ; @_ZL13im2col_kernelI6__halfEvPKfPT_lllllllllllliiiiii
; %bb.0:
	s_clause 0x1
	s_load_b32 s2, s[0:1], 0x94
	s_load_b64 s[22:23], s[0:1], 0x68
	s_bfe_u32 s3, ttmp6, 0x4000c
	s_and_b32 s4, ttmp6, 15
	s_add_co_i32 s3, s3, 1
	s_getreg_b32 s30, hwreg(HW_REG_IB_STS2, 6, 4)
	s_mul_i32 s3, ttmp9, s3
	v_mov_b32_e32 v1, 0
	s_add_co_i32 s4, s4, s3
	s_mov_b32 s21, 0
	s_wait_kmcnt 0x0
	s_and_b32 s2, s2, 0xffff
	s_cmp_eq_u32 s30, 0
	s_cselect_b32 s3, ttmp9, s4
	s_delay_alu instid0(SALU_CYCLE_1) | instskip(SKIP_1) | instid1(VALU_DEP_1)
	v_mad_u32 v0, s3, s2, v0
	s_mov_b32 s2, exec_lo
	v_cmpx_gt_i64_e64 s[22:23], v[0:1]
	s_cbranch_execz .LBB0_20
; %bb.1:
	s_load_b256 s[4:11], s[0:1], 0x18
	s_bfe_u32 s2, ttmp6, 0x40010
	s_and_b32 s3, ttmp7, 0xffff
	s_add_co_i32 s2, s2, 1
	s_bfe_u32 s12, ttmp6, 0x40004
	s_mul_i32 s2, s3, s2
	s_delay_alu instid0(SALU_CYCLE_1)
	s_add_co_i32 s12, s12, s2
	s_cmp_eq_u32 s30, 0
	s_cselect_b32 s20, s3, s12
	s_wait_kmcnt 0x0
	v_cmp_le_i64_e64 s2, s[10:11], s[20:21]
	s_and_b32 vcc_lo, exec_lo, s2
	s_cbranch_vccnz .LBB0_20
; %bb.2:
	s_clause 0x1
	s_load_b256 s[12:19], s[0:1], 0x48
	s_load_b64 s[24:25], s[0:1], 0x38
	s_wait_kmcnt 0x0
	s_and_b64 s[2:3], s[18:19], 0xffffffff00000000
	s_delay_alu instid0(SALU_CYCLE_1)
	s_cmp_lg_u64 s[2:3], 0
	s_cbranch_scc0 .LBB0_21
; %bb.3:
	s_ashr_i32 s26, s19, 31
	v_add_nc_u64_e32 v[2:3], 0, v[0:1]
	s_mov_b32 s27, s26
	v_mov_b32_e32 v5, 0
	s_add_nc_u64 s[2:3], s[18:19], s[26:27]
	s_delay_alu instid0(SALU_CYCLE_1) | instskip(NEXT) | instid1(VALU_DEP_2)
	s_xor_b64 s[28:29], s[2:3], s[26:27]
	v_mov_b32_e32 v4, v2
	s_cvt_f32_u32 s2, s28
	s_cvt_f32_u32 s3, s29
	s_sub_nc_u64 s[36:37], 0, s[28:29]
	s_delay_alu instid0(SALU_CYCLE_2) | instskip(NEXT) | instid1(SALU_CYCLE_3)
	s_fmamk_f32 s2, s3, 0x4f800000, s2
	v_s_rcp_f32 s2, s2
	s_delay_alu instid0(TRANS32_DEP_1) | instskip(NEXT) | instid1(SALU_CYCLE_3)
	s_mul_f32 s2, s2, 0x5f7ffffc
	s_mul_f32 s3, s2, 0x2f800000
	s_delay_alu instid0(SALU_CYCLE_3) | instskip(NEXT) | instid1(SALU_CYCLE_3)
	s_trunc_f32 s3, s3
	s_fmamk_f32 s2, s3, 0xcf800000, s2
	s_cvt_u32_f32 s35, s3
	s_mov_b32 s3, 0
	s_delay_alu instid0(SALU_CYCLE_1) | instskip(NEXT) | instid1(SALU_CYCLE_3)
	s_cvt_u32_f32 s34, s2
	s_mul_u64 s[38:39], s[36:37], s[34:35]
	s_delay_alu instid0(SALU_CYCLE_1)
	s_mul_hi_u32 s41, s34, s39
	s_mul_i32 s40, s34, s39
	s_mul_hi_u32 s2, s34, s38
	s_mul_i32 s31, s35, s38
	s_add_nc_u64 s[40:41], s[2:3], s[40:41]
	s_mul_hi_u32 s27, s35, s38
	s_mul_hi_u32 s33, s35, s39
	s_add_co_u32 s2, s40, s31
	s_add_co_ci_u32 s2, s41, s27
	s_mul_i32 s38, s35, s39
	s_add_co_ci_u32 s39, s33, 0
	s_delay_alu instid0(SALU_CYCLE_1) | instskip(NEXT) | instid1(SALU_CYCLE_1)
	s_add_nc_u64 s[38:39], s[2:3], s[38:39]
	s_add_co_u32 s34, s34, s38
	s_cselect_b32 s2, -1, 0
	s_delay_alu instid0(SALU_CYCLE_1) | instskip(SKIP_1) | instid1(SALU_CYCLE_1)
	s_cmp_lg_u32 s2, 0
	s_add_co_ci_u32 s35, s35, s39
	s_mul_u64 s[36:37], s[36:37], s[34:35]
	s_delay_alu instid0(SALU_CYCLE_1)
	s_mul_hi_u32 s39, s34, s37
	s_mul_i32 s38, s34, s37
	s_mul_hi_u32 s2, s34, s36
	s_mul_i32 s31, s35, s36
	s_add_nc_u64 s[38:39], s[2:3], s[38:39]
	s_mul_hi_u32 s27, s35, s36
	s_mul_hi_u32 s33, s35, s37
	s_add_co_u32 s2, s38, s31
	s_add_co_ci_u32 s2, s39, s27
	s_mul_i32 s36, s35, s37
	s_add_co_ci_u32 s37, s33, 0
	s_delay_alu instid0(SALU_CYCLE_1) | instskip(NEXT) | instid1(SALU_CYCLE_1)
	s_add_nc_u64 s[36:37], s[2:3], s[36:37]
	s_add_co_u32 s34, s34, s36
	s_cselect_b32 s2, -1, 0
	s_delay_alu instid0(SALU_CYCLE_1)
	s_cmp_lg_u32 s2, 0
	s_add_co_ci_u32 s2, s35, s37
	s_mov_b64 s[36:37], 0xffffffff
	v_nop
	v_mul_u64_e32 v[6:7], s[2:3], v[4:5]
	v_mul_hi_u32 v4, v2, s34
	s_and_b64 s[34:35], s[34:35], s[36:37]
	s_delay_alu instid0(VALU_DEP_1) | instskip(SKIP_1) | instid1(VALU_DEP_1)
	v_add_nc_u64_e32 v[6:7], v[4:5], v[6:7]
	v_mov_b32_e32 v4, v3
	v_mul_u64_e32 v[8:9], s[34:35], v[4:5]
	v_mul_u64_e32 v[10:11], s[2:3], v[4:5]
	s_delay_alu instid0(VALU_DEP_2) | instskip(NEXT) | instid1(VALU_DEP_3)
	v_add_co_u32 v4, vcc_lo, v6, v8
	v_add_co_ci_u32_e32 v4, vcc_lo, v7, v9, vcc_lo
	s_delay_alu instid0(VALU_DEP_3) | instskip(NEXT) | instid1(VALU_DEP_1)
	v_add_co_ci_u32_e32 v11, vcc_lo, 0, v11, vcc_lo
	v_add_nc_u64_e32 v[4:5], v[4:5], v[10:11]
	s_delay_alu instid0(VALU_DEP_1) | instskip(NEXT) | instid1(VALU_DEP_1)
	v_mul_u64_e32 v[6:7], s[28:29], v[4:5]
	v_sub_nc_u32_e32 v8, v3, v7
	s_delay_alu instid0(VALU_DEP_2) | instskip(NEXT) | instid1(VALU_DEP_1)
	v_sub_co_u32 v2, vcc_lo, v2, v6
	v_sub_co_ci_u32_e64 v7, null, v3, v7, vcc_lo
	s_delay_alu instid0(VALU_DEP_3) | instskip(NEXT) | instid1(VALU_DEP_3)
	v_subrev_co_ci_u32_e64 v6, null, s29, v8, vcc_lo
	v_sub_co_u32 v10, s2, v2, s28
	v_cmp_le_u32_e32 vcc_lo, s28, v2
	s_delay_alu instid0(VALU_DEP_3) | instskip(NEXT) | instid1(VALU_DEP_3)
	v_subrev_co_ci_u32_e64 v6, null, 0, v6, s2
	v_cmp_le_u32_e64 s2, s28, v10
	v_add_nc_u64_e32 v[8:9], 2, v[4:5]
	v_cndmask_b32_e64 v12, 0, -1, vcc_lo
	s_delay_alu instid0(VALU_DEP_4) | instskip(SKIP_3) | instid1(VALU_DEP_1)
	v_cmp_eq_u32_e32 vcc_lo, s29, v6
	v_add_nc_u64_e32 v[2:3], 1, v[4:5]
	v_cndmask_b32_e64 v10, 0, -1, s2
	v_cmp_le_u32_e64 s2, s29, v6
	v_cndmask_b32_e64 v11, 0, -1, s2
	v_cmp_eq_u32_e64 s2, s29, v7
	s_delay_alu instid0(VALU_DEP_2) | instskip(SKIP_2) | instid1(VALU_DEP_3)
	v_cndmask_b32_e32 v6, v11, v10, vcc_lo
	v_cmp_le_u32_e32 vcc_lo, s29, v7
	v_cndmask_b32_e64 v10, 0, -1, vcc_lo
	v_cmp_ne_u32_e32 vcc_lo, 0, v6
	s_delay_alu instid0(VALU_DEP_2) | instskip(SKIP_1) | instid1(VALU_DEP_2)
	v_dual_cndmask_b32 v6, v10, v12, s2 :: v_dual_cndmask_b32 v3, v3, v9, vcc_lo
	v_cndmask_b32_e32 v2, v2, v8, vcc_lo
	v_cmp_ne_u32_e32 vcc_lo, 0, v6
	s_delay_alu instid0(VALU_DEP_2) | instskip(SKIP_1) | instid1(VALU_DEP_2)
	v_dual_cndmask_b32 v5, v5, v3 :: v_dual_cndmask_b32 v4, v4, v2
	v_dual_mov_b32 v3, s26 :: v_dual_mov_b32 v2, s26
	v_xor_b32_e32 v5, s26, v5
	s_delay_alu instid0(VALU_DEP_3) | instskip(NEXT) | instid1(VALU_DEP_1)
	v_xor_b32_e32 v4, s26, v4
	v_sub_nc_u64_e32 v[2:3], v[4:5], v[2:3]
	s_cbranch_execnz .LBB0_5
.LBB0_4:
	v_cvt_f32_u32_e32 v2, s18
	s_sub_co_i32 s2, 0, s18
	s_delay_alu instid0(VALU_DEP_1) | instskip(SKIP_1) | instid1(TRANS32_DEP_1)
	v_rcp_iflag_f32_e32 v2, v2
	v_nop
	v_mul_f32_e32 v2, 0x4f7ffffe, v2
	s_delay_alu instid0(VALU_DEP_1) | instskip(NEXT) | instid1(VALU_DEP_1)
	v_cvt_u32_f32_e32 v2, v2
	v_mul_lo_u32 v3, s2, v2
	s_delay_alu instid0(VALU_DEP_1) | instskip(NEXT) | instid1(VALU_DEP_1)
	v_mul_hi_u32 v3, v2, v3
	v_add_nc_u32_e32 v2, v2, v3
	s_delay_alu instid0(VALU_DEP_1) | instskip(NEXT) | instid1(VALU_DEP_1)
	v_mul_hi_u32 v2, v0, v2
	v_mul_lo_u32 v3, v2, s18
	s_delay_alu instid0(VALU_DEP_1) | instskip(NEXT) | instid1(VALU_DEP_1)
	v_dual_add_nc_u32 v4, 1, v2 :: v_dual_sub_nc_u32 v3, v0, v3
	v_subrev_nc_u32_e32 v5, s18, v3
	v_cmp_le_u32_e32 vcc_lo, s18, v3
	s_delay_alu instid0(VALU_DEP_2) | instskip(NEXT) | instid1(VALU_DEP_1)
	v_dual_cndmask_b32 v3, v3, v5 :: v_dual_cndmask_b32 v2, v2, v4
	v_cmp_le_u32_e32 vcc_lo, s18, v3
	s_delay_alu instid0(VALU_DEP_2) | instskip(NEXT) | instid1(VALU_DEP_1)
	v_dual_mov_b32 v3, 0 :: v_dual_add_nc_u32 v4, 1, v2
	v_cndmask_b32_e32 v2, v2, v4, vcc_lo
.LBB0_5:
	s_delay_alu instid0(VALU_DEP_1) | instskip(SKIP_2) | instid1(VALU_DEP_2)
	v_mul_u64_e32 v[4:5], s[18:19], v[2:3]
                                        ; implicit-def: $vgpr8_vgpr9
	s_mov_b32 s2, exec_lo
	v_mov_b32_e32 v6, 0
	v_sub_nc_u64_e32 v[4:5], v[0:1], v[4:5]
	s_delay_alu instid0(VALU_DEP_1) | instskip(NEXT) | instid1(VALU_DEP_1)
	v_or_b32_e32 v7, s25, v5
	v_cmpx_ne_u64_e32 0, v[6:7]
	s_xor_b32 s3, exec_lo, s2
	s_cbranch_execz .LBB0_7
; %bb.6:
	s_ashr_i32 s18, s25, 31
	s_mov_b32 s39, 0
	s_mov_b32 s19, s18
	v_dual_mov_b32 v13, v6 :: v_dual_ashrrev_i32 v8, 31, v5
	s_add_nc_u64 s[26:27], s[24:25], s[18:19]
	v_dual_mov_b32 v21, v6 :: v_dual_mov_b32 v7, v6
	s_xor_b64 s[26:27], s[26:27], s[18:19]
	s_delay_alu instid0(VALU_DEP_2) | instskip(SKIP_3) | instid1(VALU_DEP_1)
	v_mov_b32_e32 v9, v8
	s_cvt_f32_u32 s2, s26
	s_cvt_f32_u32 s19, s27
	s_sub_nc_u64 s[34:35], 0, s[26:27]
	v_add_nc_u64_e32 v[10:11], v[4:5], v[8:9]
	s_delay_alu instid0(SALU_CYCLE_1) | instskip(SKIP_1) | instid1(SALU_CYCLE_2)
	s_fmamk_f32 s2, s19, 0x4f800000, s2
	v_mov_b32_e32 v15, v6
	v_s_rcp_f32 s2, s2
	s_delay_alu instid0(VALU_DEP_2) | instskip(NEXT) | instid1(VALU_DEP_3)
	v_xor_b32_e32 v12, v10, v8
	v_xor_b32_e32 v14, v11, v8
	;; [unrolled: 1-line block ×3, first 2 shown]
	s_delay_alu instid0(TRANS32_DEP_1) | instskip(NEXT) | instid1(SALU_CYCLE_3)
	s_mul_f32 s2, s2, 0x5f7ffffc
	s_mul_f32 s19, s2, 0x2f800000
	s_delay_alu instid0(SALU_CYCLE_3) | instskip(NEXT) | instid1(SALU_CYCLE_3)
	s_trunc_f32 s19, s19
	s_fmamk_f32 s2, s19, 0xcf800000, s2
	s_cvt_u32_f32 s29, s19
	s_delay_alu instid0(SALU_CYCLE_2) | instskip(NEXT) | instid1(SALU_CYCLE_3)
	s_cvt_u32_f32 s28, s2
	s_mul_u64 s[36:37], s[34:35], s[28:29]
	s_delay_alu instid0(SALU_CYCLE_1)
	s_mul_hi_u32 s41, s28, s37
	s_mul_i32 s40, s28, s37
	s_mul_hi_u32 s38, s28, s36
	s_mul_i32 s19, s29, s36
	s_add_nc_u64 s[40:41], s[38:39], s[40:41]
	s_mul_hi_u32 s2, s29, s36
	s_mul_hi_u32 s31, s29, s37
	s_add_co_u32 s19, s40, s19
	s_add_co_ci_u32 s38, s41, s2
	s_mul_i32 s36, s29, s37
	s_add_co_ci_u32 s37, s31, 0
	s_delay_alu instid0(SALU_CYCLE_1) | instskip(NEXT) | instid1(SALU_CYCLE_1)
	s_add_nc_u64 s[36:37], s[38:39], s[36:37]
	s_add_co_u32 s28, s28, s36
	s_cselect_b32 s2, -1, 0
	s_delay_alu instid0(SALU_CYCLE_1) | instskip(SKIP_1) | instid1(SALU_CYCLE_1)
	s_cmp_lg_u32 s2, 0
	s_add_co_ci_u32 s29, s29, s37
	s_mul_u64 s[34:35], s[34:35], s[28:29]
	s_delay_alu instid0(SALU_CYCLE_1)
	s_mul_hi_u32 s37, s28, s35
	s_mul_i32 s36, s28, s35
	s_mul_hi_u32 s38, s28, s34
	s_mul_i32 s19, s29, s34
	s_add_nc_u64 s[36:37], s[38:39], s[36:37]
	s_mul_hi_u32 s2, s29, s34
	s_mul_hi_u32 s31, s29, s35
	s_add_co_u32 s19, s36, s19
	s_add_co_ci_u32 s38, s37, s2
	s_mul_i32 s34, s29, s35
	s_add_co_ci_u32 s35, s31, 0
	s_delay_alu instid0(SALU_CYCLE_1) | instskip(NEXT) | instid1(SALU_CYCLE_1)
	s_add_nc_u64 s[34:35], s[38:39], s[34:35]
	s_add_co_u32 s2, s28, s34
	s_cselect_b32 s19, -1, 0
	v_mul_hi_u32 v20, v12, s2
	s_cmp_lg_u32 s19, 0
	s_add_co_ci_u32 s38, s29, s35
	s_mov_b64 s[28:29], 0xffffffff
	v_mul_u64_e32 v[16:17], s[38:39], v[12:13]
	s_and_b64 s[28:29], s[2:3], s[28:29]
	v_mul_u64_e32 v[18:19], s[38:39], v[14:15]
	v_mul_u64_e32 v[10:11], s[28:29], v[14:15]
	s_delay_alu instid0(VALU_DEP_3) | instskip(NEXT) | instid1(VALU_DEP_1)
	v_add_nc_u64_e32 v[16:17], v[20:21], v[16:17]
	v_add_co_u32 v6, vcc_lo, v16, v10
	s_delay_alu instid0(VALU_DEP_2) | instskip(SKIP_1) | instid1(VALU_DEP_1)
	v_add_co_ci_u32_e32 v6, vcc_lo, v17, v11, vcc_lo
	v_add_co_ci_u32_e32 v19, vcc_lo, 0, v19, vcc_lo
	v_add_nc_u64_e32 v[6:7], v[6:7], v[18:19]
	s_delay_alu instid0(VALU_DEP_1) | instskip(NEXT) | instid1(VALU_DEP_1)
	v_mul_u64_e32 v[10:11], s[26:27], v[6:7]
	v_sub_nc_u32_e32 v9, v14, v11
	s_delay_alu instid0(VALU_DEP_2) | instskip(NEXT) | instid1(VALU_DEP_1)
	v_sub_co_u32 v10, vcc_lo, v12, v10
	v_sub_co_ci_u32_e64 v14, null, v14, v11, vcc_lo
	s_delay_alu instid0(VALU_DEP_3) | instskip(NEXT) | instid1(VALU_DEP_3)
	v_subrev_co_ci_u32_e64 v9, null, s27, v9, vcc_lo
	v_sub_co_u32 v12, s2, v10, s26
	s_delay_alu instid0(VALU_DEP_1) | instskip(NEXT) | instid1(VALU_DEP_2)
	v_subrev_co_ci_u32_e64 v9, null, 0, v9, s2
	v_cmp_le_u32_e32 vcc_lo, s26, v12
	v_cndmask_b32_e64 v11, 0, -1, vcc_lo
	s_delay_alu instid0(VALU_DEP_3)
	v_cmp_le_u32_e32 vcc_lo, s27, v9
	v_cndmask_b32_e64 v12, 0, -1, vcc_lo
	v_cmp_le_u32_e32 vcc_lo, s26, v10
	v_cndmask_b32_e64 v15, 0, -1, vcc_lo
	;; [unrolled: 2-line block ×3, first 2 shown]
	v_cmp_eq_u32_e32 vcc_lo, s27, v9
	v_cndmask_b32_e32 v9, v12, v11, vcc_lo
	v_cmp_eq_u32_e32 vcc_lo, s27, v14
	v_add_nc_u64_e32 v[10:11], 2, v[6:7]
	v_add_nc_u64_e32 v[12:13], 1, v[6:7]
	v_cndmask_b32_e32 v14, v16, v15, vcc_lo
	v_cmp_ne_u32_e32 vcc_lo, 0, v9
	s_delay_alu instid0(VALU_DEP_2) | instskip(NEXT) | instid1(VALU_DEP_4)
	v_cmp_ne_u32_e64 s2, 0, v14
	v_dual_cndmask_b32 v10, v12, v10 :: v_dual_cndmask_b32 v9, v13, v11
	s_delay_alu instid0(VALU_DEP_1) | instskip(NEXT) | instid1(VALU_DEP_1)
	v_dual_cndmask_b32 v6, v6, v10, s2 :: v_dual_cndmask_b32 v7, v7, v9, s2
	v_dual_mov_b32 v9, v8 :: v_dual_bitop2_b32 v6, v6, v8 bitop3:0x14
	s_delay_alu instid0(VALU_DEP_2) | instskip(NEXT) | instid1(VALU_DEP_1)
	v_xor_b32_e32 v7, v7, v8
	v_sub_nc_u64_e32 v[8:9], v[6:7], v[8:9]
.LBB0_7:
	s_and_not1_saveexec_b32 s2, s3
	s_cbranch_execz .LBB0_9
; %bb.8:
	v_cvt_f32_u32_e32 v6, s24
	s_sub_co_i32 s3, 0, s24
	s_delay_alu instid0(VALU_DEP_1) | instskip(SKIP_1) | instid1(TRANS32_DEP_1)
	v_rcp_iflag_f32_e32 v6, v6
	v_nop
	v_mul_f32_e32 v6, 0x4f7ffffe, v6
	s_delay_alu instid0(VALU_DEP_1) | instskip(NEXT) | instid1(VALU_DEP_1)
	v_cvt_u32_f32_e32 v6, v6
	v_mul_lo_u32 v7, s3, v6
	s_delay_alu instid0(VALU_DEP_1) | instskip(NEXT) | instid1(VALU_DEP_1)
	v_mul_hi_u32 v7, v6, v7
	v_add_nc_u32_e32 v6, v6, v7
	s_delay_alu instid0(VALU_DEP_1) | instskip(NEXT) | instid1(VALU_DEP_1)
	v_mul_hi_u32 v6, v4, v6
	v_mul_lo_u32 v7, v6, s24
	s_delay_alu instid0(VALU_DEP_1) | instskip(NEXT) | instid1(VALU_DEP_1)
	v_dual_add_nc_u32 v8, 1, v6 :: v_dual_sub_nc_u32 v7, v4, v7
	v_subrev_nc_u32_e32 v9, s24, v7
	v_cmp_le_u32_e32 vcc_lo, s24, v7
	s_delay_alu instid0(VALU_DEP_2) | instskip(NEXT) | instid1(VALU_DEP_4)
	v_dual_cndmask_b32 v7, v7, v9, vcc_lo :: v_dual_mov_b32 v9, 0
	v_cndmask_b32_e32 v6, v6, v8, vcc_lo
	s_delay_alu instid0(VALU_DEP_2) | instskip(NEXT) | instid1(VALU_DEP_2)
	v_cmp_le_u32_e32 vcc_lo, s24, v7
	v_add_nc_u32_e32 v8, 1, v6
	s_delay_alu instid0(VALU_DEP_1)
	v_cndmask_b32_e32 v8, v6, v8, vcc_lo
.LBB0_9:
	s_or_b32 exec_lo, exec_lo, s2
	s_delay_alu instid0(VALU_DEP_1)
	v_mul_u64_e32 v[6:7], s[24:25], v[8:9]
	s_load_b64 s[18:19], s[0:1], 0x80
	s_bfe_u32 s2, ttmp6, 0x40014
	s_lshr_b32 s3, ttmp7, 16
	s_add_co_i32 s2, s2, 1
	s_bfe_u32 s24, ttmp6, 0x40008
	s_mul_i32 s2, s3, s2
	v_mul_u64_e32 v[2:3], s[12:13], v[2:3]
	s_add_co_i32 s24, s24, s2
	s_cmp_eq_u32 s30, 0
	s_load_b128 s[28:31], s[0:1], 0x0
	s_cselect_b32 s2, s3, s24
	s_mov_b32 s3, 0
	s_delay_alu instid0(SALU_CYCLE_1)
	v_cmp_gt_i64_e64 s37, s[16:17], s[2:3]
	s_wait_kmcnt 0x0
	s_ashr_i32 s13, s18, 31
	s_ashr_i32 s25, s19, 31
	s_mov_b32 s24, s19
	s_mov_b32 s12, s18
	s_mov_b64 s[18:19], s[2:3]
	v_sub_nc_u64_e32 v[4:5], v[4:5], v[6:7]
	v_mul_u64_e32 v[6:7], s[24:25], v[8:9]
	s_load_b128 s[24:27], s[0:1], 0x70
	s_wait_xcnt 0x0
	s_mul_u64 s[0:1], s[10:11], s[2:3]
	s_delay_alu instid0(SALU_CYCLE_1) | instskip(NEXT) | instid1(SALU_CYCLE_1)
	s_add_nc_u64 s[0:1], s[0:1], s[20:21]
	s_mul_u64 s[0:1], s[22:23], s[0:1]
	v_mul_u64_e32 v[8:9], s[12:13], v[4:5]
	v_cvt_f32_u32_e32 v4, s8
	s_mul_u64 s[12:13], s[22:23], 0x1fffe
	s_lshl_b64 s[0:1], s[0:1], 1
	v_lshl_add_u64 v[2:3], v[2:3], 2, s[28:29]
	s_add_nc_u64 s[0:1], s[30:31], s[0:1]
	v_rcp_iflag_f32_e32 v4, v4
	v_lshl_add_u64 v[0:1], v[0:1], 1, s[0:1]
	s_delay_alu instid0(TRANS32_DEP_1)
	v_mul_f32_e32 v10, 0x4f7ffffe, v4
	s_wait_kmcnt 0x0
	s_ashr_i32 s33, s24, 31
	s_mov_b32 s34, s24
	s_ashr_i32 s23, s26, 31
	s_mov_b32 s22, s26
	;; [unrolled: 2-line block ×4, first 2 shown]
	v_cvt_u32_f32_e32 v14, v10
	s_ashr_i32 s26, s9, 31
	v_sub_nc_u64_e64 v[4:5], v[6:7], s[24:25]
	s_sub_nc_u64 s[24:25], 0, s[8:9]
	v_sub_nc_u64_e64 v[6:7], v[8:9], s[22:23]
	s_mul_u64 s[22:23], s[12:13], s[10:11]
	s_branch .LBB0_11
.LBB0_10:                               ;   in Loop: Header=BB0_11 Depth=1
	s_add_nc_u64 s[20:21], s[20:21], 0xffff
	v_add_nc_u64_e32 v[0:1], s[12:13], v[0:1]
	v_cmp_ge_i64_e64 s0, s[20:21], s[10:11]
	s_and_b32 vcc_lo, exec_lo, s0
	s_cbranch_vccnz .LBB0_20
.LBB0_11:                               ; =>This Loop Header: Depth=1
                                        ;     Child Loop BB0_14 Depth 2
	s_and_not1_b32 vcc_lo, exec_lo, s37
	s_cbranch_vccnz .LBB0_10
; %bb.12:                               ;   in Loop: Header=BB0_11 Depth=1
	s_delay_alu instid0(VALU_DEP_1) | instskip(SKIP_4) | instid1(VALU_DEP_2)
	v_mad_nc_u64_u32 v[8:9], s20, s34, v[6:7]
	s_mul_i32 s0, s21, s34
	s_mul_i32 s1, s20, s33
	v_mov_b64_e32 v[10:11], v[0:1]
	s_mov_b64 s[28:29], s[18:19]
	v_add3_u32 v9, s1, s0, v9
	s_delay_alu instid0(VALU_DEP_1)
	v_cmp_lt_i64_e32 vcc_lo, -1, v[8:9]
	v_cmp_gt_i64_e64 s0, s[4:5], v[8:9]
	s_and_b32 s38, vcc_lo, s0
	s_branch .LBB0_14
.LBB0_13:                               ;   in Loop: Header=BB0_14 Depth=2
	s_wait_xcnt 0x0
	s_or_b32 exec_lo, exec_lo, s0
	s_add_nc_u64 s[28:29], s[28:29], 0xffff
	global_store_b16 v[10:11], v15, off
	v_cmp_ge_i64_e64 s0, s[28:29], s[16:17]
	s_wait_xcnt 0x0
	v_add_nc_u64_e32 v[10:11], s[22:23], v[10:11]
	s_and_b32 vcc_lo, exec_lo, s0
	s_cbranch_vccnz .LBB0_10
.LBB0_14:                               ;   Parent Loop BB0_11 Depth=1
                                        ; =>  This Inner Loop Header: Depth=2
	s_or_b64 s[0:1], s[28:29], s[8:9]
	s_delay_alu instid0(SALU_CYCLE_1) | instskip(NEXT) | instid1(SALU_CYCLE_1)
	s_and_b64 s[0:1], s[0:1], 0xffffffff00000000
	s_cmp_lg_u64 s[0:1], 0
	s_cbranch_scc0 .LBB0_19
; %bb.15:                               ;   in Loop: Header=BB0_14 Depth=2
	s_mov_b32 s27, s26
	s_delay_alu instid0(SALU_CYCLE_1) | instskip(NEXT) | instid1(SALU_CYCLE_1)
	s_add_nc_u64 s[0:1], s[8:9], s[26:27]
	s_xor_b64 s[0:1], s[0:1], s[26:27]
	s_delay_alu instid0(SALU_CYCLE_1) | instskip(SKIP_2) | instid1(SALU_CYCLE_2)
	s_cvt_f32_u32 s2, s0
	s_cvt_f32_u32 s30, s1
	s_sub_nc_u64 s[40:41], 0, s[0:1]
	s_fmamk_f32 s2, s30, 0x4f800000, s2
	s_delay_alu instid0(SALU_CYCLE_3) | instskip(NEXT) | instid1(TRANS32_DEP_1)
	v_s_rcp_f32 s2, s2
	s_mul_f32 s2, s2, 0x5f7ffffc
	s_delay_alu instid0(SALU_CYCLE_3) | instskip(NEXT) | instid1(SALU_CYCLE_3)
	s_mul_f32 s30, s2, 0x2f800000
	s_trunc_f32 s30, s30
	s_delay_alu instid0(SALU_CYCLE_3) | instskip(SKIP_1) | instid1(SALU_CYCLE_2)
	s_fmamk_f32 s2, s30, 0xcf800000, s2
	s_cvt_u32_f32 s31, s30
	s_cvt_u32_f32 s30, s2
	s_delay_alu instid0(SALU_CYCLE_3) | instskip(NEXT) | instid1(SALU_CYCLE_1)
	s_mul_u64 s[42:43], s[40:41], s[30:31]
	s_mul_hi_u32 s45, s30, s43
	s_mul_i32 s44, s30, s43
	s_mul_hi_u32 s2, s30, s42
	s_mul_i32 s46, s31, s42
	s_add_nc_u64 s[44:45], s[2:3], s[44:45]
	s_mul_hi_u32 s39, s31, s42
	s_mul_hi_u32 s47, s31, s43
	s_add_co_u32 s2, s44, s46
	s_add_co_ci_u32 s2, s45, s39
	s_mul_i32 s42, s31, s43
	s_add_co_ci_u32 s43, s47, 0
	s_delay_alu instid0(SALU_CYCLE_1) | instskip(NEXT) | instid1(SALU_CYCLE_1)
	s_add_nc_u64 s[42:43], s[2:3], s[42:43]
	s_add_co_u32 s30, s30, s42
	s_cselect_b32 s2, -1, 0
	s_delay_alu instid0(SALU_CYCLE_1) | instskip(SKIP_1) | instid1(SALU_CYCLE_1)
	s_cmp_lg_u32 s2, 0
	s_add_co_ci_u32 s31, s31, s43
	s_mul_u64 s[40:41], s[40:41], s[30:31]
	s_delay_alu instid0(SALU_CYCLE_1)
	s_mul_hi_u32 s43, s30, s41
	s_mul_i32 s42, s30, s41
	s_mul_hi_u32 s2, s30, s40
	s_mul_i32 s44, s31, s40
	s_add_nc_u64 s[42:43], s[2:3], s[42:43]
	s_mul_hi_u32 s39, s31, s40
	s_mul_hi_u32 s45, s31, s41
	s_add_co_u32 s2, s42, s44
	s_add_co_ci_u32 s2, s43, s39
	s_mul_i32 s40, s31, s41
	s_add_co_ci_u32 s41, s45, 0
	s_delay_alu instid0(SALU_CYCLE_1) | instskip(NEXT) | instid1(SALU_CYCLE_1)
	s_add_nc_u64 s[40:41], s[2:3], s[40:41]
	s_add_co_u32 s39, s30, s40
	s_cselect_b32 s2, -1, 0
	s_delay_alu instid0(SALU_CYCLE_1) | instskip(SKIP_2) | instid1(SALU_CYCLE_1)
	s_cmp_lg_u32 s2, 0
	s_add_co_ci_u32 s44, s31, s41
	s_ashr_i32 s30, s29, 31
	s_mov_b32 s31, s30
	s_delay_alu instid0(SALU_CYCLE_1) | instskip(NEXT) | instid1(SALU_CYCLE_1)
	s_add_nc_u64 s[40:41], s[28:29], s[30:31]
	s_xor_b64 s[40:41], s[40:41], s[30:31]
	s_delay_alu instid0(SALU_CYCLE_1)
	s_mul_hi_u32 s43, s40, s44
	s_mul_i32 s42, s40, s44
	s_mul_hi_u32 s2, s40, s39
	s_mul_hi_u32 s46, s41, s39
	s_mul_i32 s39, s41, s39
	s_add_nc_u64 s[42:43], s[2:3], s[42:43]
	s_mul_hi_u32 s45, s41, s44
	s_add_co_u32 s2, s42, s39
	s_add_co_ci_u32 s2, s43, s46
	s_mul_i32 s44, s41, s44
	s_add_co_ci_u32 s45, s45, 0
	s_delay_alu instid0(SALU_CYCLE_1) | instskip(NEXT) | instid1(SALU_CYCLE_1)
	s_add_nc_u64 s[42:43], s[2:3], s[44:45]
	s_and_b64 s[44:45], s[42:43], 0xffffffff00000000
	s_delay_alu instid0(SALU_CYCLE_1) | instskip(NEXT) | instid1(SALU_CYCLE_1)
	s_or_b32 s44, s44, s42
	s_mul_u64 s[42:43], s[0:1], s[44:45]
	s_delay_alu instid0(SALU_CYCLE_1)
	s_sub_co_u32 s2, s40, s42
	s_cselect_b32 s39, -1, 0
	s_sub_co_i32 s40, s41, s43
	s_cmp_lg_u32 s39, 0
	s_sub_co_ci_u32 s40, s40, s1
	s_sub_co_u32 s42, s2, s0
	s_cselect_b32 s46, -1, 0
	s_delay_alu instid0(SALU_CYCLE_1) | instskip(SKIP_2) | instid1(SALU_CYCLE_1)
	s_cmp_lg_u32 s46, 0
	s_add_nc_u64 s[46:47], s[44:45], 1
	s_sub_co_ci_u32 s40, s40, 0
	s_cmp_ge_u32 s40, s1
	s_cselect_b32 s48, -1, 0
	s_cmp_ge_u32 s42, s0
	s_cselect_b32 s42, -1, 0
	s_cmp_eq_u32 s40, s1
	s_cselect_b32 s40, s42, s48
	s_add_nc_u64 s[48:49], s[44:45], 2
	s_cmp_lg_u32 s40, 0
	s_cselect_b32 s40, s48, s46
	s_cselect_b32 s42, s49, s47
	s_cmp_lg_u32 s39, 0
	s_sub_co_ci_u32 s39, s41, s43
	s_delay_alu instid0(SALU_CYCLE_1)
	s_cmp_ge_u32 s39, s1
	s_cselect_b32 s41, -1, 0
	s_cmp_ge_u32 s2, s0
	s_cselect_b32 s0, -1, 0
	s_cmp_eq_u32 s39, s1
	s_cselect_b32 s0, s0, s41
	s_delay_alu instid0(SALU_CYCLE_1) | instskip(SKIP_3) | instid1(SALU_CYCLE_1)
	s_cmp_lg_u32 s0, 0
	s_cselect_b32 s1, s42, s45
	s_cselect_b32 s0, s40, s44
	s_xor_b64 s[30:31], s[30:31], s[26:27]
	s_xor_b64 s[0:1], s[0:1], s[30:31]
	s_delay_alu instid0(SALU_CYCLE_1)
	s_sub_nc_u64 s[30:31], s[0:1], s[30:31]
	s_cbranch_execnz .LBB0_17
.LBB0_16:                               ;   in Loop: Header=BB0_14 Depth=2
	v_readfirstlane_b32 s0, v14
	s_sub_co_i32 s1, 0, s8
	s_delay_alu instid0(SALU_CYCLE_1) | instskip(NEXT) | instid1(SALU_CYCLE_1)
	s_mul_i32 s1, s1, s0
	s_mul_hi_u32 s1, s0, s1
	s_delay_alu instid0(SALU_CYCLE_1) | instskip(NEXT) | instid1(SALU_CYCLE_1)
	s_add_co_i32 s0, s0, s1
	s_mul_hi_u32 s0, s28, s0
	s_delay_alu instid0(SALU_CYCLE_1) | instskip(SKIP_2) | instid1(SALU_CYCLE_1)
	s_mul_i32 s1, s0, s8
	s_add_co_i32 s2, s0, 1
	s_sub_co_i32 s1, s28, s1
	s_sub_co_i32 s27, s1, s8
	s_cmp_ge_u32 s1, s8
	s_cselect_b32 s0, s2, s0
	s_cselect_b32 s1, s27, s1
	s_add_co_i32 s2, s0, 1
	s_cmp_ge_u32 s1, s8
	s_cselect_b32 s2, s2, s0
	s_delay_alu instid0(SALU_CYCLE_1)
	s_mov_b64 s[30:31], s[2:3]
.LBB0_17:                               ;   in Loop: Header=BB0_14 Depth=2
	s_delay_alu instid0(SALU_CYCLE_1) | instskip(SKIP_2) | instid1(SALU_CYCLE_1)
	s_mul_u64 s[0:1], s[24:25], s[30:31]
	v_mov_b32_e32 v15, 0
	s_add_nc_u64 s[0:1], s[28:29], s[0:1]
	v_mad_nc_u64_u32 v[12:13], s0, s36, v[4:5]
	s_mul_i32 s1, s1, s36
	s_mul_i32 s0, s0, s35
	s_delay_alu instid0(VALU_DEP_1) | instid1(SALU_CYCLE_1)
	v_add3_u32 v13, s0, s1, v13
	s_delay_alu instid0(VALU_DEP_1) | instskip(SKIP_2) | instid1(SALU_CYCLE_1)
	v_cmp_lt_i64_e32 vcc_lo, -1, v[12:13]
	v_cmp_gt_i64_e64 s0, s[6:7], v[12:13]
	s_and_b32 s0, vcc_lo, s0
	s_and_b32 s1, s0, s38
	s_delay_alu instid0(SALU_CYCLE_1)
	s_and_saveexec_b32 s0, s1
	s_cbranch_execz .LBB0_13
; %bb.18:                               ;   in Loop: Header=BB0_14 Depth=2
	v_mul_u64_e32 v[12:13], s[4:5], v[12:13]
	s_mul_u64 s[30:31], s[30:31], s[14:15]
	s_delay_alu instid0(SALU_CYCLE_1) | instskip(NEXT) | instid1(VALU_DEP_1)
	v_lshl_add_u64 v[16:17], s[30:31], 2, v[2:3]
	v_lshl_add_u64 v[12:13], v[12:13], 2, v[16:17]
	s_delay_alu instid0(VALU_DEP_1)
	v_lshl_add_u64 v[12:13], v[8:9], 2, v[12:13]
	global_load_b32 v12, v[12:13], off
	s_wait_loadcnt 0x0
	v_cvt_f16_f32_e32 v15, v12
	s_branch .LBB0_13
.LBB0_19:                               ;   in Loop: Header=BB0_14 Depth=2
                                        ; implicit-def: $sgpr30_sgpr31
	s_branch .LBB0_16
.LBB0_20:
	s_endpgm
.LBB0_21:
                                        ; implicit-def: $vgpr2_vgpr3
	s_branch .LBB0_4
	.section	.rodata,"a",@progbits
	.p2align	6, 0x0
	.amdhsa_kernel _ZL13im2col_kernelI6__halfEvPKfPT_lllllllllllliiiiii
		.amdhsa_group_segment_fixed_size 0
		.amdhsa_private_segment_fixed_size 0
		.amdhsa_kernarg_size 392
		.amdhsa_user_sgpr_count 2
		.amdhsa_user_sgpr_dispatch_ptr 0
		.amdhsa_user_sgpr_queue_ptr 0
		.amdhsa_user_sgpr_kernarg_segment_ptr 1
		.amdhsa_user_sgpr_dispatch_id 0
		.amdhsa_user_sgpr_kernarg_preload_length 0
		.amdhsa_user_sgpr_kernarg_preload_offset 0
		.amdhsa_user_sgpr_private_segment_size 0
		.amdhsa_wavefront_size32 1
		.amdhsa_uses_dynamic_stack 0
		.amdhsa_enable_private_segment 0
		.amdhsa_system_sgpr_workgroup_id_x 1
		.amdhsa_system_sgpr_workgroup_id_y 1
		.amdhsa_system_sgpr_workgroup_id_z 1
		.amdhsa_system_sgpr_workgroup_info 0
		.amdhsa_system_vgpr_workitem_id 0
		.amdhsa_next_free_vgpr 22
		.amdhsa_next_free_sgpr 50
		.amdhsa_named_barrier_count 0
		.amdhsa_reserve_vcc 1
		.amdhsa_float_round_mode_32 0
		.amdhsa_float_round_mode_16_64 0
		.amdhsa_float_denorm_mode_32 3
		.amdhsa_float_denorm_mode_16_64 3
		.amdhsa_fp16_overflow 0
		.amdhsa_memory_ordered 1
		.amdhsa_forward_progress 1
		.amdhsa_inst_pref_size 23
		.amdhsa_round_robin_scheduling 0
		.amdhsa_exception_fp_ieee_invalid_op 0
		.amdhsa_exception_fp_denorm_src 0
		.amdhsa_exception_fp_ieee_div_zero 0
		.amdhsa_exception_fp_ieee_overflow 0
		.amdhsa_exception_fp_ieee_underflow 0
		.amdhsa_exception_fp_ieee_inexact 0
		.amdhsa_exception_int_div_zero 0
	.end_amdhsa_kernel
	.section	.text._ZL13im2col_kernelI6__halfEvPKfPT_lllllllllllliiiiii,"axG",@progbits,_ZL13im2col_kernelI6__halfEvPKfPT_lllllllllllliiiiii,comdat
.Lfunc_end0:
	.size	_ZL13im2col_kernelI6__halfEvPKfPT_lllllllllllliiiiii, .Lfunc_end0-_ZL13im2col_kernelI6__halfEvPKfPT_lllllllllllliiiiii
                                        ; -- End function
	.set _ZL13im2col_kernelI6__halfEvPKfPT_lllllllllllliiiiii.num_vgpr, 22
	.set _ZL13im2col_kernelI6__halfEvPKfPT_lllllllllllliiiiii.num_agpr, 0
	.set _ZL13im2col_kernelI6__halfEvPKfPT_lllllllllllliiiiii.numbered_sgpr, 50
	.set _ZL13im2col_kernelI6__halfEvPKfPT_lllllllllllliiiiii.num_named_barrier, 0
	.set _ZL13im2col_kernelI6__halfEvPKfPT_lllllllllllliiiiii.private_seg_size, 0
	.set _ZL13im2col_kernelI6__halfEvPKfPT_lllllllllllliiiiii.uses_vcc, 1
	.set _ZL13im2col_kernelI6__halfEvPKfPT_lllllllllllliiiiii.uses_flat_scratch, 0
	.set _ZL13im2col_kernelI6__halfEvPKfPT_lllllllllllliiiiii.has_dyn_sized_stack, 0
	.set _ZL13im2col_kernelI6__halfEvPKfPT_lllllllllllliiiiii.has_recursion, 0
	.set _ZL13im2col_kernelI6__halfEvPKfPT_lllllllllllliiiiii.has_indirect_call, 0
	.section	.AMDGPU.csdata,"",@progbits
; Kernel info:
; codeLenInByte = 2912
; TotalNumSgprs: 52
; NumVgprs: 22
; ScratchSize: 0
; MemoryBound: 0
; FloatMode: 240
; IeeeMode: 1
; LDSByteSize: 0 bytes/workgroup (compile time only)
; SGPRBlocks: 0
; VGPRBlocks: 1
; NumSGPRsForWavesPerEU: 52
; NumVGPRsForWavesPerEU: 22
; NamedBarCnt: 0
; Occupancy: 16
; WaveLimiterHint : 1
; COMPUTE_PGM_RSRC2:SCRATCH_EN: 0
; COMPUTE_PGM_RSRC2:USER_SGPR: 2
; COMPUTE_PGM_RSRC2:TRAP_HANDLER: 0
; COMPUTE_PGM_RSRC2:TGID_X_EN: 1
; COMPUTE_PGM_RSRC2:TGID_Y_EN: 1
; COMPUTE_PGM_RSRC2:TGID_Z_EN: 1
; COMPUTE_PGM_RSRC2:TIDIG_COMP_CNT: 0
	.section	.text._ZL13im2col_kernelIfEvPKfPT_lllllllllllliiiiii,"axG",@progbits,_ZL13im2col_kernelIfEvPKfPT_lllllllllllliiiiii,comdat
	.globl	_ZL13im2col_kernelIfEvPKfPT_lllllllllllliiiiii ; -- Begin function _ZL13im2col_kernelIfEvPKfPT_lllllllllllliiiiii
	.p2align	8
	.type	_ZL13im2col_kernelIfEvPKfPT_lllllllllllliiiiii,@function
_ZL13im2col_kernelIfEvPKfPT_lllllllllllliiiiii: ; @_ZL13im2col_kernelIfEvPKfPT_lllllllllllliiiiii
; %bb.0:
	s_clause 0x1
	s_load_b32 s2, s[0:1], 0x94
	s_load_b64 s[22:23], s[0:1], 0x68
	s_bfe_u32 s3, ttmp6, 0x4000c
	s_and_b32 s4, ttmp6, 15
	s_add_co_i32 s3, s3, 1
	s_getreg_b32 s30, hwreg(HW_REG_IB_STS2, 6, 4)
	s_mul_i32 s3, ttmp9, s3
	v_mov_b32_e32 v1, 0
	s_add_co_i32 s4, s4, s3
	s_mov_b32 s21, 0
	s_wait_kmcnt 0x0
	s_and_b32 s2, s2, 0xffff
	s_cmp_eq_u32 s30, 0
	s_cselect_b32 s3, ttmp9, s4
	s_delay_alu instid0(SALU_CYCLE_1) | instskip(SKIP_1) | instid1(VALU_DEP_1)
	v_mad_u32 v0, s3, s2, v0
	s_mov_b32 s2, exec_lo
	v_cmpx_gt_i64_e64 s[22:23], v[0:1]
	s_cbranch_execz .LBB1_20
; %bb.1:
	s_load_b256 s[4:11], s[0:1], 0x18
	s_bfe_u32 s2, ttmp6, 0x40010
	s_and_b32 s3, ttmp7, 0xffff
	s_add_co_i32 s2, s2, 1
	s_bfe_u32 s12, ttmp6, 0x40004
	s_mul_i32 s2, s3, s2
	s_delay_alu instid0(SALU_CYCLE_1)
	s_add_co_i32 s12, s12, s2
	s_cmp_eq_u32 s30, 0
	s_cselect_b32 s20, s3, s12
	s_wait_kmcnt 0x0
	v_cmp_le_i64_e64 s2, s[10:11], s[20:21]
	s_and_b32 vcc_lo, exec_lo, s2
	s_cbranch_vccnz .LBB1_20
; %bb.2:
	s_clause 0x1
	s_load_b256 s[12:19], s[0:1], 0x48
	s_load_b64 s[24:25], s[0:1], 0x38
	s_wait_kmcnt 0x0
	s_and_b64 s[2:3], s[18:19], 0xffffffff00000000
	s_delay_alu instid0(SALU_CYCLE_1)
	s_cmp_lg_u64 s[2:3], 0
	s_cbranch_scc0 .LBB1_21
; %bb.3:
	s_ashr_i32 s26, s19, 31
	v_add_nc_u64_e32 v[2:3], 0, v[0:1]
	s_mov_b32 s27, s26
	v_mov_b32_e32 v5, 0
	s_add_nc_u64 s[2:3], s[18:19], s[26:27]
	s_delay_alu instid0(SALU_CYCLE_1) | instskip(NEXT) | instid1(VALU_DEP_2)
	s_xor_b64 s[28:29], s[2:3], s[26:27]
	v_mov_b32_e32 v4, v2
	s_cvt_f32_u32 s2, s28
	s_cvt_f32_u32 s3, s29
	s_sub_nc_u64 s[36:37], 0, s[28:29]
	s_delay_alu instid0(SALU_CYCLE_2) | instskip(NEXT) | instid1(SALU_CYCLE_3)
	s_fmamk_f32 s2, s3, 0x4f800000, s2
	v_s_rcp_f32 s2, s2
	s_delay_alu instid0(TRANS32_DEP_1) | instskip(NEXT) | instid1(SALU_CYCLE_3)
	s_mul_f32 s2, s2, 0x5f7ffffc
	s_mul_f32 s3, s2, 0x2f800000
	s_delay_alu instid0(SALU_CYCLE_3) | instskip(NEXT) | instid1(SALU_CYCLE_3)
	s_trunc_f32 s3, s3
	s_fmamk_f32 s2, s3, 0xcf800000, s2
	s_cvt_u32_f32 s35, s3
	s_mov_b32 s3, 0
	s_delay_alu instid0(SALU_CYCLE_1) | instskip(NEXT) | instid1(SALU_CYCLE_3)
	s_cvt_u32_f32 s34, s2
	s_mul_u64 s[38:39], s[36:37], s[34:35]
	s_delay_alu instid0(SALU_CYCLE_1)
	s_mul_hi_u32 s41, s34, s39
	s_mul_i32 s40, s34, s39
	s_mul_hi_u32 s2, s34, s38
	s_mul_i32 s31, s35, s38
	s_add_nc_u64 s[40:41], s[2:3], s[40:41]
	s_mul_hi_u32 s27, s35, s38
	s_mul_hi_u32 s33, s35, s39
	s_add_co_u32 s2, s40, s31
	s_add_co_ci_u32 s2, s41, s27
	s_mul_i32 s38, s35, s39
	s_add_co_ci_u32 s39, s33, 0
	s_delay_alu instid0(SALU_CYCLE_1) | instskip(NEXT) | instid1(SALU_CYCLE_1)
	s_add_nc_u64 s[38:39], s[2:3], s[38:39]
	s_add_co_u32 s34, s34, s38
	s_cselect_b32 s2, -1, 0
	s_delay_alu instid0(SALU_CYCLE_1) | instskip(SKIP_1) | instid1(SALU_CYCLE_1)
	s_cmp_lg_u32 s2, 0
	s_add_co_ci_u32 s35, s35, s39
	s_mul_u64 s[36:37], s[36:37], s[34:35]
	s_delay_alu instid0(SALU_CYCLE_1)
	s_mul_hi_u32 s39, s34, s37
	s_mul_i32 s38, s34, s37
	s_mul_hi_u32 s2, s34, s36
	s_mul_i32 s31, s35, s36
	s_add_nc_u64 s[38:39], s[2:3], s[38:39]
	s_mul_hi_u32 s27, s35, s36
	s_mul_hi_u32 s33, s35, s37
	s_add_co_u32 s2, s38, s31
	s_add_co_ci_u32 s2, s39, s27
	s_mul_i32 s36, s35, s37
	s_add_co_ci_u32 s37, s33, 0
	s_delay_alu instid0(SALU_CYCLE_1) | instskip(NEXT) | instid1(SALU_CYCLE_1)
	s_add_nc_u64 s[36:37], s[2:3], s[36:37]
	s_add_co_u32 s34, s34, s36
	s_cselect_b32 s2, -1, 0
	s_delay_alu instid0(SALU_CYCLE_1)
	s_cmp_lg_u32 s2, 0
	s_add_co_ci_u32 s2, s35, s37
	s_mov_b64 s[36:37], 0xffffffff
	v_nop
	v_mul_u64_e32 v[6:7], s[2:3], v[4:5]
	v_mul_hi_u32 v4, v2, s34
	s_and_b64 s[34:35], s[34:35], s[36:37]
	s_delay_alu instid0(VALU_DEP_1) | instskip(SKIP_1) | instid1(VALU_DEP_1)
	v_add_nc_u64_e32 v[6:7], v[4:5], v[6:7]
	v_mov_b32_e32 v4, v3
	v_mul_u64_e32 v[8:9], s[34:35], v[4:5]
	v_mul_u64_e32 v[10:11], s[2:3], v[4:5]
	s_delay_alu instid0(VALU_DEP_2) | instskip(NEXT) | instid1(VALU_DEP_3)
	v_add_co_u32 v4, vcc_lo, v6, v8
	v_add_co_ci_u32_e32 v4, vcc_lo, v7, v9, vcc_lo
	s_delay_alu instid0(VALU_DEP_3) | instskip(NEXT) | instid1(VALU_DEP_1)
	v_add_co_ci_u32_e32 v11, vcc_lo, 0, v11, vcc_lo
	v_add_nc_u64_e32 v[4:5], v[4:5], v[10:11]
	s_delay_alu instid0(VALU_DEP_1) | instskip(NEXT) | instid1(VALU_DEP_1)
	v_mul_u64_e32 v[6:7], s[28:29], v[4:5]
	v_sub_nc_u32_e32 v8, v3, v7
	s_delay_alu instid0(VALU_DEP_2) | instskip(NEXT) | instid1(VALU_DEP_1)
	v_sub_co_u32 v2, vcc_lo, v2, v6
	v_sub_co_ci_u32_e64 v7, null, v3, v7, vcc_lo
	s_delay_alu instid0(VALU_DEP_3) | instskip(NEXT) | instid1(VALU_DEP_3)
	v_subrev_co_ci_u32_e64 v6, null, s29, v8, vcc_lo
	v_sub_co_u32 v10, s2, v2, s28
	v_cmp_le_u32_e32 vcc_lo, s28, v2
	s_delay_alu instid0(VALU_DEP_3) | instskip(NEXT) | instid1(VALU_DEP_3)
	v_subrev_co_ci_u32_e64 v6, null, 0, v6, s2
	v_cmp_le_u32_e64 s2, s28, v10
	v_add_nc_u64_e32 v[8:9], 2, v[4:5]
	v_cndmask_b32_e64 v12, 0, -1, vcc_lo
	s_delay_alu instid0(VALU_DEP_4) | instskip(SKIP_3) | instid1(VALU_DEP_1)
	v_cmp_eq_u32_e32 vcc_lo, s29, v6
	v_add_nc_u64_e32 v[2:3], 1, v[4:5]
	v_cndmask_b32_e64 v10, 0, -1, s2
	v_cmp_le_u32_e64 s2, s29, v6
	v_cndmask_b32_e64 v11, 0, -1, s2
	v_cmp_eq_u32_e64 s2, s29, v7
	s_delay_alu instid0(VALU_DEP_2) | instskip(SKIP_2) | instid1(VALU_DEP_3)
	v_cndmask_b32_e32 v6, v11, v10, vcc_lo
	v_cmp_le_u32_e32 vcc_lo, s29, v7
	v_cndmask_b32_e64 v10, 0, -1, vcc_lo
	v_cmp_ne_u32_e32 vcc_lo, 0, v6
	s_delay_alu instid0(VALU_DEP_2) | instskip(SKIP_1) | instid1(VALU_DEP_2)
	v_dual_cndmask_b32 v6, v10, v12, s2 :: v_dual_cndmask_b32 v3, v3, v9, vcc_lo
	v_cndmask_b32_e32 v2, v2, v8, vcc_lo
	v_cmp_ne_u32_e32 vcc_lo, 0, v6
	s_delay_alu instid0(VALU_DEP_2) | instskip(SKIP_1) | instid1(VALU_DEP_2)
	v_dual_cndmask_b32 v5, v5, v3 :: v_dual_cndmask_b32 v4, v4, v2
	v_dual_mov_b32 v3, s26 :: v_dual_mov_b32 v2, s26
	v_xor_b32_e32 v5, s26, v5
	s_delay_alu instid0(VALU_DEP_3) | instskip(NEXT) | instid1(VALU_DEP_1)
	v_xor_b32_e32 v4, s26, v4
	v_sub_nc_u64_e32 v[2:3], v[4:5], v[2:3]
	s_cbranch_execnz .LBB1_5
.LBB1_4:
	v_cvt_f32_u32_e32 v2, s18
	s_sub_co_i32 s2, 0, s18
	s_delay_alu instid0(VALU_DEP_1) | instskip(SKIP_1) | instid1(TRANS32_DEP_1)
	v_rcp_iflag_f32_e32 v2, v2
	v_nop
	v_mul_f32_e32 v2, 0x4f7ffffe, v2
	s_delay_alu instid0(VALU_DEP_1) | instskip(NEXT) | instid1(VALU_DEP_1)
	v_cvt_u32_f32_e32 v2, v2
	v_mul_lo_u32 v3, s2, v2
	s_delay_alu instid0(VALU_DEP_1) | instskip(NEXT) | instid1(VALU_DEP_1)
	v_mul_hi_u32 v3, v2, v3
	v_add_nc_u32_e32 v2, v2, v3
	s_delay_alu instid0(VALU_DEP_1) | instskip(NEXT) | instid1(VALU_DEP_1)
	v_mul_hi_u32 v2, v0, v2
	v_mul_lo_u32 v3, v2, s18
	s_delay_alu instid0(VALU_DEP_1) | instskip(NEXT) | instid1(VALU_DEP_1)
	v_dual_add_nc_u32 v4, 1, v2 :: v_dual_sub_nc_u32 v3, v0, v3
	v_subrev_nc_u32_e32 v5, s18, v3
	v_cmp_le_u32_e32 vcc_lo, s18, v3
	s_delay_alu instid0(VALU_DEP_2) | instskip(NEXT) | instid1(VALU_DEP_1)
	v_dual_cndmask_b32 v3, v3, v5 :: v_dual_cndmask_b32 v2, v2, v4
	v_cmp_le_u32_e32 vcc_lo, s18, v3
	s_delay_alu instid0(VALU_DEP_2) | instskip(NEXT) | instid1(VALU_DEP_1)
	v_dual_mov_b32 v3, 0 :: v_dual_add_nc_u32 v4, 1, v2
	v_cndmask_b32_e32 v2, v2, v4, vcc_lo
.LBB1_5:
	s_delay_alu instid0(VALU_DEP_1) | instskip(SKIP_2) | instid1(VALU_DEP_2)
	v_mul_u64_e32 v[4:5], s[18:19], v[2:3]
                                        ; implicit-def: $vgpr8_vgpr9
	s_mov_b32 s2, exec_lo
	v_mov_b32_e32 v6, 0
	v_sub_nc_u64_e32 v[4:5], v[0:1], v[4:5]
	s_delay_alu instid0(VALU_DEP_1) | instskip(NEXT) | instid1(VALU_DEP_1)
	v_or_b32_e32 v7, s25, v5
	v_cmpx_ne_u64_e32 0, v[6:7]
	s_xor_b32 s3, exec_lo, s2
	s_cbranch_execz .LBB1_7
; %bb.6:
	s_ashr_i32 s18, s25, 31
	s_mov_b32 s39, 0
	s_mov_b32 s19, s18
	v_dual_mov_b32 v13, v6 :: v_dual_ashrrev_i32 v8, 31, v5
	s_add_nc_u64 s[26:27], s[24:25], s[18:19]
	v_dual_mov_b32 v21, v6 :: v_dual_mov_b32 v7, v6
	s_xor_b64 s[26:27], s[26:27], s[18:19]
	s_delay_alu instid0(VALU_DEP_2) | instskip(SKIP_3) | instid1(VALU_DEP_1)
	v_mov_b32_e32 v9, v8
	s_cvt_f32_u32 s2, s26
	s_cvt_f32_u32 s19, s27
	s_sub_nc_u64 s[34:35], 0, s[26:27]
	v_add_nc_u64_e32 v[10:11], v[4:5], v[8:9]
	s_delay_alu instid0(SALU_CYCLE_1) | instskip(SKIP_1) | instid1(SALU_CYCLE_2)
	s_fmamk_f32 s2, s19, 0x4f800000, s2
	v_mov_b32_e32 v15, v6
	v_s_rcp_f32 s2, s2
	s_delay_alu instid0(VALU_DEP_2) | instskip(NEXT) | instid1(VALU_DEP_3)
	v_xor_b32_e32 v12, v10, v8
	v_xor_b32_e32 v14, v11, v8
	;; [unrolled: 1-line block ×3, first 2 shown]
	s_delay_alu instid0(TRANS32_DEP_1) | instskip(NEXT) | instid1(SALU_CYCLE_3)
	s_mul_f32 s2, s2, 0x5f7ffffc
	s_mul_f32 s19, s2, 0x2f800000
	s_delay_alu instid0(SALU_CYCLE_3) | instskip(NEXT) | instid1(SALU_CYCLE_3)
	s_trunc_f32 s19, s19
	s_fmamk_f32 s2, s19, 0xcf800000, s2
	s_cvt_u32_f32 s29, s19
	s_delay_alu instid0(SALU_CYCLE_2) | instskip(NEXT) | instid1(SALU_CYCLE_3)
	s_cvt_u32_f32 s28, s2
	s_mul_u64 s[36:37], s[34:35], s[28:29]
	s_delay_alu instid0(SALU_CYCLE_1)
	s_mul_hi_u32 s41, s28, s37
	s_mul_i32 s40, s28, s37
	s_mul_hi_u32 s38, s28, s36
	s_mul_i32 s19, s29, s36
	s_add_nc_u64 s[40:41], s[38:39], s[40:41]
	s_mul_hi_u32 s2, s29, s36
	s_mul_hi_u32 s31, s29, s37
	s_add_co_u32 s19, s40, s19
	s_add_co_ci_u32 s38, s41, s2
	s_mul_i32 s36, s29, s37
	s_add_co_ci_u32 s37, s31, 0
	s_delay_alu instid0(SALU_CYCLE_1) | instskip(NEXT) | instid1(SALU_CYCLE_1)
	s_add_nc_u64 s[36:37], s[38:39], s[36:37]
	s_add_co_u32 s28, s28, s36
	s_cselect_b32 s2, -1, 0
	s_delay_alu instid0(SALU_CYCLE_1) | instskip(SKIP_1) | instid1(SALU_CYCLE_1)
	s_cmp_lg_u32 s2, 0
	s_add_co_ci_u32 s29, s29, s37
	s_mul_u64 s[34:35], s[34:35], s[28:29]
	s_delay_alu instid0(SALU_CYCLE_1)
	s_mul_hi_u32 s37, s28, s35
	s_mul_i32 s36, s28, s35
	s_mul_hi_u32 s38, s28, s34
	s_mul_i32 s19, s29, s34
	s_add_nc_u64 s[36:37], s[38:39], s[36:37]
	s_mul_hi_u32 s2, s29, s34
	s_mul_hi_u32 s31, s29, s35
	s_add_co_u32 s19, s36, s19
	s_add_co_ci_u32 s38, s37, s2
	s_mul_i32 s34, s29, s35
	s_add_co_ci_u32 s35, s31, 0
	s_delay_alu instid0(SALU_CYCLE_1) | instskip(NEXT) | instid1(SALU_CYCLE_1)
	s_add_nc_u64 s[34:35], s[38:39], s[34:35]
	s_add_co_u32 s2, s28, s34
	s_cselect_b32 s19, -1, 0
	v_mul_hi_u32 v20, v12, s2
	s_cmp_lg_u32 s19, 0
	s_add_co_ci_u32 s38, s29, s35
	s_mov_b64 s[28:29], 0xffffffff
	v_mul_u64_e32 v[16:17], s[38:39], v[12:13]
	s_and_b64 s[28:29], s[2:3], s[28:29]
	v_mul_u64_e32 v[18:19], s[38:39], v[14:15]
	v_mul_u64_e32 v[10:11], s[28:29], v[14:15]
	s_delay_alu instid0(VALU_DEP_3) | instskip(NEXT) | instid1(VALU_DEP_1)
	v_add_nc_u64_e32 v[16:17], v[20:21], v[16:17]
	v_add_co_u32 v6, vcc_lo, v16, v10
	s_delay_alu instid0(VALU_DEP_2) | instskip(SKIP_1) | instid1(VALU_DEP_1)
	v_add_co_ci_u32_e32 v6, vcc_lo, v17, v11, vcc_lo
	v_add_co_ci_u32_e32 v19, vcc_lo, 0, v19, vcc_lo
	v_add_nc_u64_e32 v[6:7], v[6:7], v[18:19]
	s_delay_alu instid0(VALU_DEP_1) | instskip(NEXT) | instid1(VALU_DEP_1)
	v_mul_u64_e32 v[10:11], s[26:27], v[6:7]
	v_sub_nc_u32_e32 v9, v14, v11
	s_delay_alu instid0(VALU_DEP_2) | instskip(NEXT) | instid1(VALU_DEP_1)
	v_sub_co_u32 v10, vcc_lo, v12, v10
	v_sub_co_ci_u32_e64 v14, null, v14, v11, vcc_lo
	s_delay_alu instid0(VALU_DEP_3) | instskip(NEXT) | instid1(VALU_DEP_3)
	v_subrev_co_ci_u32_e64 v9, null, s27, v9, vcc_lo
	v_sub_co_u32 v12, s2, v10, s26
	s_delay_alu instid0(VALU_DEP_1) | instskip(NEXT) | instid1(VALU_DEP_2)
	v_subrev_co_ci_u32_e64 v9, null, 0, v9, s2
	v_cmp_le_u32_e32 vcc_lo, s26, v12
	v_cndmask_b32_e64 v11, 0, -1, vcc_lo
	s_delay_alu instid0(VALU_DEP_3)
	v_cmp_le_u32_e32 vcc_lo, s27, v9
	v_cndmask_b32_e64 v12, 0, -1, vcc_lo
	v_cmp_le_u32_e32 vcc_lo, s26, v10
	v_cndmask_b32_e64 v15, 0, -1, vcc_lo
	;; [unrolled: 2-line block ×3, first 2 shown]
	v_cmp_eq_u32_e32 vcc_lo, s27, v9
	v_cndmask_b32_e32 v9, v12, v11, vcc_lo
	v_cmp_eq_u32_e32 vcc_lo, s27, v14
	v_add_nc_u64_e32 v[10:11], 2, v[6:7]
	v_add_nc_u64_e32 v[12:13], 1, v[6:7]
	v_cndmask_b32_e32 v14, v16, v15, vcc_lo
	v_cmp_ne_u32_e32 vcc_lo, 0, v9
	s_delay_alu instid0(VALU_DEP_2) | instskip(NEXT) | instid1(VALU_DEP_4)
	v_cmp_ne_u32_e64 s2, 0, v14
	v_dual_cndmask_b32 v10, v12, v10 :: v_dual_cndmask_b32 v9, v13, v11
	s_delay_alu instid0(VALU_DEP_1) | instskip(NEXT) | instid1(VALU_DEP_1)
	v_dual_cndmask_b32 v6, v6, v10, s2 :: v_dual_cndmask_b32 v7, v7, v9, s2
	v_dual_mov_b32 v9, v8 :: v_dual_bitop2_b32 v6, v6, v8 bitop3:0x14
	s_delay_alu instid0(VALU_DEP_2) | instskip(NEXT) | instid1(VALU_DEP_1)
	v_xor_b32_e32 v7, v7, v8
	v_sub_nc_u64_e32 v[8:9], v[6:7], v[8:9]
.LBB1_7:
	s_and_not1_saveexec_b32 s2, s3
	s_cbranch_execz .LBB1_9
; %bb.8:
	v_cvt_f32_u32_e32 v6, s24
	s_sub_co_i32 s3, 0, s24
	s_delay_alu instid0(VALU_DEP_1) | instskip(SKIP_1) | instid1(TRANS32_DEP_1)
	v_rcp_iflag_f32_e32 v6, v6
	v_nop
	v_mul_f32_e32 v6, 0x4f7ffffe, v6
	s_delay_alu instid0(VALU_DEP_1) | instskip(NEXT) | instid1(VALU_DEP_1)
	v_cvt_u32_f32_e32 v6, v6
	v_mul_lo_u32 v7, s3, v6
	s_delay_alu instid0(VALU_DEP_1) | instskip(NEXT) | instid1(VALU_DEP_1)
	v_mul_hi_u32 v7, v6, v7
	v_add_nc_u32_e32 v6, v6, v7
	s_delay_alu instid0(VALU_DEP_1) | instskip(NEXT) | instid1(VALU_DEP_1)
	v_mul_hi_u32 v6, v4, v6
	v_mul_lo_u32 v7, v6, s24
	s_delay_alu instid0(VALU_DEP_1) | instskip(NEXT) | instid1(VALU_DEP_1)
	v_dual_add_nc_u32 v8, 1, v6 :: v_dual_sub_nc_u32 v7, v4, v7
	v_subrev_nc_u32_e32 v9, s24, v7
	v_cmp_le_u32_e32 vcc_lo, s24, v7
	s_delay_alu instid0(VALU_DEP_2) | instskip(NEXT) | instid1(VALU_DEP_4)
	v_dual_cndmask_b32 v7, v7, v9, vcc_lo :: v_dual_mov_b32 v9, 0
	v_cndmask_b32_e32 v6, v6, v8, vcc_lo
	s_delay_alu instid0(VALU_DEP_2) | instskip(NEXT) | instid1(VALU_DEP_2)
	v_cmp_le_u32_e32 vcc_lo, s24, v7
	v_add_nc_u32_e32 v8, 1, v6
	s_delay_alu instid0(VALU_DEP_1)
	v_cndmask_b32_e32 v8, v6, v8, vcc_lo
.LBB1_9:
	s_or_b32 exec_lo, exec_lo, s2
	s_delay_alu instid0(VALU_DEP_1)
	v_mul_u64_e32 v[6:7], s[24:25], v[8:9]
	s_load_b64 s[18:19], s[0:1], 0x80
	s_bfe_u32 s2, ttmp6, 0x40014
	s_lshr_b32 s3, ttmp7, 16
	s_add_co_i32 s2, s2, 1
	s_bfe_u32 s24, ttmp6, 0x40008
	s_mul_i32 s2, s3, s2
	v_mul_u64_e32 v[2:3], s[12:13], v[2:3]
	s_add_co_i32 s24, s24, s2
	s_cmp_eq_u32 s30, 0
	s_load_b128 s[28:31], s[0:1], 0x0
	s_cselect_b32 s2, s3, s24
	s_mov_b32 s3, 0
	s_delay_alu instid0(SALU_CYCLE_1)
	v_cmp_gt_i64_e64 s37, s[16:17], s[2:3]
	s_wait_kmcnt 0x0
	s_ashr_i32 s13, s18, 31
	s_ashr_i32 s25, s19, 31
	s_mov_b32 s24, s19
	s_mov_b32 s12, s18
	s_mov_b64 s[18:19], s[2:3]
	v_sub_nc_u64_e32 v[4:5], v[4:5], v[6:7]
	v_mul_u64_e32 v[6:7], s[24:25], v[8:9]
	s_load_b128 s[24:27], s[0:1], 0x70
	s_wait_xcnt 0x0
	s_mul_u64 s[0:1], s[10:11], s[2:3]
	s_delay_alu instid0(SALU_CYCLE_1) | instskip(NEXT) | instid1(SALU_CYCLE_1)
	s_add_nc_u64 s[0:1], s[0:1], s[20:21]
	s_mul_u64 s[0:1], s[22:23], s[0:1]
	v_mul_u64_e32 v[8:9], s[12:13], v[4:5]
	v_cvt_f32_u32_e32 v4, s8
	s_mul_u64 s[12:13], s[22:23], 0x3fffc
	s_lshl_b64 s[0:1], s[0:1], 2
	v_lshl_add_u64 v[2:3], v[2:3], 2, s[28:29]
	s_add_nc_u64 s[0:1], s[30:31], s[0:1]
	v_rcp_iflag_f32_e32 v4, v4
	v_lshl_add_u64 v[0:1], v[0:1], 2, s[0:1]
	s_delay_alu instid0(TRANS32_DEP_1)
	v_mul_f32_e32 v10, 0x4f7ffffe, v4
	s_wait_kmcnt 0x0
	s_ashr_i32 s33, s24, 31
	s_mov_b32 s34, s24
	s_ashr_i32 s23, s26, 31
	s_mov_b32 s22, s26
	;; [unrolled: 2-line block ×4, first 2 shown]
	v_cvt_u32_f32_e32 v14, v10
	s_ashr_i32 s26, s9, 31
	v_sub_nc_u64_e64 v[4:5], v[6:7], s[24:25]
	s_sub_nc_u64 s[24:25], 0, s[8:9]
	v_sub_nc_u64_e64 v[6:7], v[8:9], s[22:23]
	s_mul_u64 s[22:23], s[12:13], s[10:11]
	s_branch .LBB1_11
.LBB1_10:                               ;   in Loop: Header=BB1_11 Depth=1
	s_add_nc_u64 s[20:21], s[20:21], 0xffff
	v_add_nc_u64_e32 v[0:1], s[12:13], v[0:1]
	v_cmp_ge_i64_e64 s0, s[20:21], s[10:11]
	s_and_b32 vcc_lo, exec_lo, s0
	s_cbranch_vccnz .LBB1_20
.LBB1_11:                               ; =>This Loop Header: Depth=1
                                        ;     Child Loop BB1_14 Depth 2
	s_and_not1_b32 vcc_lo, exec_lo, s37
	s_cbranch_vccnz .LBB1_10
; %bb.12:                               ;   in Loop: Header=BB1_11 Depth=1
	s_delay_alu instid0(VALU_DEP_1) | instskip(SKIP_4) | instid1(VALU_DEP_2)
	v_mad_nc_u64_u32 v[8:9], s20, s34, v[6:7]
	s_mul_i32 s0, s21, s34
	s_mul_i32 s1, s20, s33
	v_mov_b64_e32 v[10:11], v[0:1]
	s_mov_b64 s[28:29], s[18:19]
	v_add3_u32 v9, s1, s0, v9
	s_delay_alu instid0(VALU_DEP_1)
	v_cmp_lt_i64_e32 vcc_lo, -1, v[8:9]
	v_cmp_gt_i64_e64 s0, s[4:5], v[8:9]
	s_and_b32 s38, vcc_lo, s0
	s_branch .LBB1_14
.LBB1_13:                               ;   in Loop: Header=BB1_14 Depth=2
	s_wait_xcnt 0x0
	s_or_b32 exec_lo, exec_lo, s0
	s_add_nc_u64 s[28:29], s[28:29], 0xffff
	s_wait_loadcnt 0x0
	global_store_b32 v[10:11], v15, off
	v_cmp_ge_i64_e64 s0, s[28:29], s[16:17]
	s_wait_xcnt 0x0
	v_add_nc_u64_e32 v[10:11], s[22:23], v[10:11]
	s_and_b32 vcc_lo, exec_lo, s0
	s_cbranch_vccnz .LBB1_10
.LBB1_14:                               ;   Parent Loop BB1_11 Depth=1
                                        ; =>  This Inner Loop Header: Depth=2
	s_or_b64 s[0:1], s[28:29], s[8:9]
	s_delay_alu instid0(SALU_CYCLE_1) | instskip(NEXT) | instid1(SALU_CYCLE_1)
	s_and_b64 s[0:1], s[0:1], 0xffffffff00000000
	s_cmp_lg_u64 s[0:1], 0
	s_cbranch_scc0 .LBB1_19
; %bb.15:                               ;   in Loop: Header=BB1_14 Depth=2
	s_mov_b32 s27, s26
	s_delay_alu instid0(SALU_CYCLE_1) | instskip(NEXT) | instid1(SALU_CYCLE_1)
	s_add_nc_u64 s[0:1], s[8:9], s[26:27]
	s_xor_b64 s[0:1], s[0:1], s[26:27]
	s_delay_alu instid0(SALU_CYCLE_1) | instskip(SKIP_2) | instid1(SALU_CYCLE_2)
	s_cvt_f32_u32 s2, s0
	s_cvt_f32_u32 s30, s1
	s_sub_nc_u64 s[40:41], 0, s[0:1]
	s_fmamk_f32 s2, s30, 0x4f800000, s2
	s_delay_alu instid0(SALU_CYCLE_3) | instskip(NEXT) | instid1(TRANS32_DEP_1)
	v_s_rcp_f32 s2, s2
	s_mul_f32 s2, s2, 0x5f7ffffc
	s_delay_alu instid0(SALU_CYCLE_3) | instskip(NEXT) | instid1(SALU_CYCLE_3)
	s_mul_f32 s30, s2, 0x2f800000
	s_trunc_f32 s30, s30
	s_delay_alu instid0(SALU_CYCLE_3) | instskip(SKIP_1) | instid1(SALU_CYCLE_2)
	s_fmamk_f32 s2, s30, 0xcf800000, s2
	s_cvt_u32_f32 s31, s30
	s_cvt_u32_f32 s30, s2
	s_delay_alu instid0(SALU_CYCLE_3) | instskip(NEXT) | instid1(SALU_CYCLE_1)
	s_mul_u64 s[42:43], s[40:41], s[30:31]
	s_mul_hi_u32 s45, s30, s43
	s_mul_i32 s44, s30, s43
	s_mul_hi_u32 s2, s30, s42
	s_mul_i32 s46, s31, s42
	s_add_nc_u64 s[44:45], s[2:3], s[44:45]
	s_mul_hi_u32 s39, s31, s42
	s_mul_hi_u32 s47, s31, s43
	s_add_co_u32 s2, s44, s46
	s_add_co_ci_u32 s2, s45, s39
	s_mul_i32 s42, s31, s43
	s_add_co_ci_u32 s43, s47, 0
	s_delay_alu instid0(SALU_CYCLE_1) | instskip(NEXT) | instid1(SALU_CYCLE_1)
	s_add_nc_u64 s[42:43], s[2:3], s[42:43]
	s_add_co_u32 s30, s30, s42
	s_cselect_b32 s2, -1, 0
	s_delay_alu instid0(SALU_CYCLE_1) | instskip(SKIP_1) | instid1(SALU_CYCLE_1)
	s_cmp_lg_u32 s2, 0
	s_add_co_ci_u32 s31, s31, s43
	s_mul_u64 s[40:41], s[40:41], s[30:31]
	s_delay_alu instid0(SALU_CYCLE_1)
	s_mul_hi_u32 s43, s30, s41
	s_mul_i32 s42, s30, s41
	s_mul_hi_u32 s2, s30, s40
	s_mul_i32 s44, s31, s40
	s_add_nc_u64 s[42:43], s[2:3], s[42:43]
	s_mul_hi_u32 s39, s31, s40
	s_mul_hi_u32 s45, s31, s41
	s_add_co_u32 s2, s42, s44
	s_add_co_ci_u32 s2, s43, s39
	s_mul_i32 s40, s31, s41
	s_add_co_ci_u32 s41, s45, 0
	s_delay_alu instid0(SALU_CYCLE_1) | instskip(NEXT) | instid1(SALU_CYCLE_1)
	s_add_nc_u64 s[40:41], s[2:3], s[40:41]
	s_add_co_u32 s39, s30, s40
	s_cselect_b32 s2, -1, 0
	s_delay_alu instid0(SALU_CYCLE_1) | instskip(SKIP_2) | instid1(SALU_CYCLE_1)
	s_cmp_lg_u32 s2, 0
	s_add_co_ci_u32 s44, s31, s41
	s_ashr_i32 s30, s29, 31
	s_mov_b32 s31, s30
	s_delay_alu instid0(SALU_CYCLE_1) | instskip(NEXT) | instid1(SALU_CYCLE_1)
	s_add_nc_u64 s[40:41], s[28:29], s[30:31]
	s_xor_b64 s[40:41], s[40:41], s[30:31]
	s_delay_alu instid0(SALU_CYCLE_1)
	s_mul_hi_u32 s43, s40, s44
	s_mul_i32 s42, s40, s44
	s_mul_hi_u32 s2, s40, s39
	s_mul_hi_u32 s46, s41, s39
	s_mul_i32 s39, s41, s39
	s_add_nc_u64 s[42:43], s[2:3], s[42:43]
	s_mul_hi_u32 s45, s41, s44
	s_add_co_u32 s2, s42, s39
	s_add_co_ci_u32 s2, s43, s46
	s_mul_i32 s44, s41, s44
	s_add_co_ci_u32 s45, s45, 0
	s_delay_alu instid0(SALU_CYCLE_1) | instskip(NEXT) | instid1(SALU_CYCLE_1)
	s_add_nc_u64 s[42:43], s[2:3], s[44:45]
	s_and_b64 s[44:45], s[42:43], 0xffffffff00000000
	s_delay_alu instid0(SALU_CYCLE_1) | instskip(NEXT) | instid1(SALU_CYCLE_1)
	s_or_b32 s44, s44, s42
	s_mul_u64 s[42:43], s[0:1], s[44:45]
	s_delay_alu instid0(SALU_CYCLE_1)
	s_sub_co_u32 s2, s40, s42
	s_cselect_b32 s39, -1, 0
	s_sub_co_i32 s40, s41, s43
	s_cmp_lg_u32 s39, 0
	s_sub_co_ci_u32 s40, s40, s1
	s_sub_co_u32 s42, s2, s0
	s_cselect_b32 s46, -1, 0
	s_delay_alu instid0(SALU_CYCLE_1) | instskip(SKIP_2) | instid1(SALU_CYCLE_1)
	s_cmp_lg_u32 s46, 0
	s_add_nc_u64 s[46:47], s[44:45], 1
	s_sub_co_ci_u32 s40, s40, 0
	s_cmp_ge_u32 s40, s1
	s_cselect_b32 s48, -1, 0
	s_cmp_ge_u32 s42, s0
	s_cselect_b32 s42, -1, 0
	s_cmp_eq_u32 s40, s1
	s_cselect_b32 s40, s42, s48
	s_add_nc_u64 s[48:49], s[44:45], 2
	s_cmp_lg_u32 s40, 0
	s_cselect_b32 s40, s48, s46
	s_cselect_b32 s42, s49, s47
	s_cmp_lg_u32 s39, 0
	s_sub_co_ci_u32 s39, s41, s43
	s_delay_alu instid0(SALU_CYCLE_1)
	s_cmp_ge_u32 s39, s1
	s_cselect_b32 s41, -1, 0
	s_cmp_ge_u32 s2, s0
	s_cselect_b32 s0, -1, 0
	s_cmp_eq_u32 s39, s1
	s_cselect_b32 s0, s0, s41
	s_delay_alu instid0(SALU_CYCLE_1) | instskip(SKIP_3) | instid1(SALU_CYCLE_1)
	s_cmp_lg_u32 s0, 0
	s_cselect_b32 s1, s42, s45
	s_cselect_b32 s0, s40, s44
	s_xor_b64 s[30:31], s[30:31], s[26:27]
	s_xor_b64 s[0:1], s[0:1], s[30:31]
	s_delay_alu instid0(SALU_CYCLE_1)
	s_sub_nc_u64 s[30:31], s[0:1], s[30:31]
	s_cbranch_execnz .LBB1_17
.LBB1_16:                               ;   in Loop: Header=BB1_14 Depth=2
	v_readfirstlane_b32 s0, v14
	s_sub_co_i32 s1, 0, s8
	s_delay_alu instid0(SALU_CYCLE_1) | instskip(NEXT) | instid1(SALU_CYCLE_1)
	s_mul_i32 s1, s1, s0
	s_mul_hi_u32 s1, s0, s1
	s_delay_alu instid0(SALU_CYCLE_1) | instskip(NEXT) | instid1(SALU_CYCLE_1)
	s_add_co_i32 s0, s0, s1
	s_mul_hi_u32 s0, s28, s0
	s_delay_alu instid0(SALU_CYCLE_1) | instskip(SKIP_2) | instid1(SALU_CYCLE_1)
	s_mul_i32 s1, s0, s8
	s_add_co_i32 s2, s0, 1
	s_sub_co_i32 s1, s28, s1
	s_sub_co_i32 s27, s1, s8
	s_cmp_ge_u32 s1, s8
	s_cselect_b32 s0, s2, s0
	s_cselect_b32 s1, s27, s1
	s_add_co_i32 s2, s0, 1
	s_cmp_ge_u32 s1, s8
	s_cselect_b32 s2, s2, s0
	s_delay_alu instid0(SALU_CYCLE_1)
	s_mov_b64 s[30:31], s[2:3]
.LBB1_17:                               ;   in Loop: Header=BB1_14 Depth=2
	s_delay_alu instid0(SALU_CYCLE_1) | instskip(SKIP_2) | instid1(SALU_CYCLE_1)
	s_mul_u64 s[0:1], s[24:25], s[30:31]
	v_mov_b32_e32 v15, 0
	s_add_nc_u64 s[0:1], s[28:29], s[0:1]
	v_mad_nc_u64_u32 v[12:13], s0, s36, v[4:5]
	s_mul_i32 s1, s1, s36
	s_mul_i32 s0, s0, s35
	s_delay_alu instid0(VALU_DEP_1) | instid1(SALU_CYCLE_1)
	v_add3_u32 v13, s0, s1, v13
	s_delay_alu instid0(VALU_DEP_1) | instskip(SKIP_2) | instid1(SALU_CYCLE_1)
	v_cmp_lt_i64_e32 vcc_lo, -1, v[12:13]
	v_cmp_gt_i64_e64 s0, s[6:7], v[12:13]
	s_and_b32 s0, vcc_lo, s0
	s_and_b32 s1, s0, s38
	s_delay_alu instid0(SALU_CYCLE_1)
	s_and_saveexec_b32 s0, s1
	s_cbranch_execz .LBB1_13
; %bb.18:                               ;   in Loop: Header=BB1_14 Depth=2
	v_mul_u64_e32 v[12:13], s[4:5], v[12:13]
	s_mul_u64 s[30:31], s[30:31], s[14:15]
	s_delay_alu instid0(SALU_CYCLE_1) | instskip(NEXT) | instid1(VALU_DEP_1)
	v_lshl_add_u64 v[16:17], s[30:31], 2, v[2:3]
	v_lshl_add_u64 v[12:13], v[12:13], 2, v[16:17]
	s_delay_alu instid0(VALU_DEP_1)
	v_lshl_add_u64 v[12:13], v[8:9], 2, v[12:13]
	global_load_b32 v15, v[12:13], off
	s_branch .LBB1_13
.LBB1_19:                               ;   in Loop: Header=BB1_14 Depth=2
                                        ; implicit-def: $sgpr30_sgpr31
	s_branch .LBB1_16
.LBB1_20:
	s_endpgm
.LBB1_21:
                                        ; implicit-def: $vgpr2_vgpr3
	s_branch .LBB1_4
	.section	.rodata,"a",@progbits
	.p2align	6, 0x0
	.amdhsa_kernel _ZL13im2col_kernelIfEvPKfPT_lllllllllllliiiiii
		.amdhsa_group_segment_fixed_size 0
		.amdhsa_private_segment_fixed_size 0
		.amdhsa_kernarg_size 392
		.amdhsa_user_sgpr_count 2
		.amdhsa_user_sgpr_dispatch_ptr 0
		.amdhsa_user_sgpr_queue_ptr 0
		.amdhsa_user_sgpr_kernarg_segment_ptr 1
		.amdhsa_user_sgpr_dispatch_id 0
		.amdhsa_user_sgpr_kernarg_preload_length 0
		.amdhsa_user_sgpr_kernarg_preload_offset 0
		.amdhsa_user_sgpr_private_segment_size 0
		.amdhsa_wavefront_size32 1
		.amdhsa_uses_dynamic_stack 0
		.amdhsa_enable_private_segment 0
		.amdhsa_system_sgpr_workgroup_id_x 1
		.amdhsa_system_sgpr_workgroup_id_y 1
		.amdhsa_system_sgpr_workgroup_id_z 1
		.amdhsa_system_sgpr_workgroup_info 0
		.amdhsa_system_vgpr_workitem_id 0
		.amdhsa_next_free_vgpr 22
		.amdhsa_next_free_sgpr 50
		.amdhsa_named_barrier_count 0
		.amdhsa_reserve_vcc 1
		.amdhsa_float_round_mode_32 0
		.amdhsa_float_round_mode_16_64 0
		.amdhsa_float_denorm_mode_32 3
		.amdhsa_float_denorm_mode_16_64 3
		.amdhsa_fp16_overflow 0
		.amdhsa_memory_ordered 1
		.amdhsa_forward_progress 1
		.amdhsa_inst_pref_size 23
		.amdhsa_round_robin_scheduling 0
		.amdhsa_exception_fp_ieee_invalid_op 0
		.amdhsa_exception_fp_denorm_src 0
		.amdhsa_exception_fp_ieee_div_zero 0
		.amdhsa_exception_fp_ieee_overflow 0
		.amdhsa_exception_fp_ieee_underflow 0
		.amdhsa_exception_fp_ieee_inexact 0
		.amdhsa_exception_int_div_zero 0
	.end_amdhsa_kernel
	.section	.text._ZL13im2col_kernelIfEvPKfPT_lllllllllllliiiiii,"axG",@progbits,_ZL13im2col_kernelIfEvPKfPT_lllllllllllliiiiii,comdat
.Lfunc_end1:
	.size	_ZL13im2col_kernelIfEvPKfPT_lllllllllllliiiiii, .Lfunc_end1-_ZL13im2col_kernelIfEvPKfPT_lllllllllllliiiiii
                                        ; -- End function
	.set _ZL13im2col_kernelIfEvPKfPT_lllllllllllliiiiii.num_vgpr, 22
	.set _ZL13im2col_kernelIfEvPKfPT_lllllllllllliiiiii.num_agpr, 0
	.set _ZL13im2col_kernelIfEvPKfPT_lllllllllllliiiiii.numbered_sgpr, 50
	.set _ZL13im2col_kernelIfEvPKfPT_lllllllllllliiiiii.num_named_barrier, 0
	.set _ZL13im2col_kernelIfEvPKfPT_lllllllllllliiiiii.private_seg_size, 0
	.set _ZL13im2col_kernelIfEvPKfPT_lllllllllllliiiiii.uses_vcc, 1
	.set _ZL13im2col_kernelIfEvPKfPT_lllllllllllliiiiii.uses_flat_scratch, 0
	.set _ZL13im2col_kernelIfEvPKfPT_lllllllllllliiiiii.has_dyn_sized_stack, 0
	.set _ZL13im2col_kernelIfEvPKfPT_lllllllllllliiiiii.has_recursion, 0
	.set _ZL13im2col_kernelIfEvPKfPT_lllllllllllliiiiii.has_indirect_call, 0
	.section	.AMDGPU.csdata,"",@progbits
; Kernel info:
; codeLenInByte = 2908
; TotalNumSgprs: 52
; NumVgprs: 22
; ScratchSize: 0
; MemoryBound: 0
; FloatMode: 240
; IeeeMode: 1
; LDSByteSize: 0 bytes/workgroup (compile time only)
; SGPRBlocks: 0
; VGPRBlocks: 1
; NumSGPRsForWavesPerEU: 52
; NumVGPRsForWavesPerEU: 22
; NamedBarCnt: 0
; Occupancy: 16
; WaveLimiterHint : 1
; COMPUTE_PGM_RSRC2:SCRATCH_EN: 0
; COMPUTE_PGM_RSRC2:USER_SGPR: 2
; COMPUTE_PGM_RSRC2:TRAP_HANDLER: 0
; COMPUTE_PGM_RSRC2:TGID_X_EN: 1
; COMPUTE_PGM_RSRC2:TGID_Y_EN: 1
; COMPUTE_PGM_RSRC2:TGID_Z_EN: 1
; COMPUTE_PGM_RSRC2:TIDIG_COMP_CNT: 0
	.section	.text._ZL16im2col_3d_kernelI6__halfEvPKfPT_llllllllllllllllllllllllllllliiiiiiiii,"axG",@progbits,_ZL16im2col_3d_kernelI6__halfEvPKfPT_llllllllllllllllllllllllllllliiiiiiiii,comdat
	.globl	_ZL16im2col_3d_kernelI6__halfEvPKfPT_llllllllllllllllllllllllllllliiiiiiiii ; -- Begin function _ZL16im2col_3d_kernelI6__halfEvPKfPT_llllllllllllllllllllllllllllliiiiiiiii
	.p2align	8
	.type	_ZL16im2col_3d_kernelI6__halfEvPKfPT_llllllllllllllllllllllllllllliiiiiiiii,@function
_ZL16im2col_3d_kernelI6__halfEvPKfPT_llllllllllllllllllllllllllllliiiiiiiii: ; @_ZL16im2col_3d_kernelI6__halfEvPKfPT_llllllllllllllllllllllllllllliiiiiiiii
; %bb.0:
	s_clause 0x1
	s_load_b32 s2, s[0:1], 0x12c
	s_load_b64 s[34:35], s[0:1], 0xa0
	s_bfe_u32 s3, ttmp6, 0x4000c
	s_and_b32 s4, ttmp6, 15
	s_add_co_i32 s3, s3, 1
	s_getreg_b32 s33, hwreg(HW_REG_IB_STS2, 6, 4)
	s_mul_i32 s3, ttmp9, s3
	v_mov_b32_e32 v7, 0
	s_add_co_i32 s4, s4, s3
	s_wait_kmcnt 0x0
	s_and_b32 s2, s2, 0xffff
	s_cmp_eq_u32 s33, 0
	s_cselect_b32 s3, ttmp9, s4
	s_delay_alu instid0(SALU_CYCLE_1) | instskip(SKIP_1) | instid1(VALU_DEP_1)
	v_mad_u32 v6, s3, s2, v0
	s_mov_b32 s2, exec_lo
	v_cmpx_gt_i64_e64 s[34:35], v[6:7]
	s_cbranch_execz .LBB2_39
; %bb.1:
	s_load_b64 s[4:5], s[0:1], 0x78
	s_wait_kmcnt 0x0
	s_and_b64 s[2:3], s[4:5], 0xffffffff00000000
	s_delay_alu instid0(SALU_CYCLE_1)
	s_cmp_lg_u64 s[2:3], 0
	s_cbranch_scc0 .LBB2_40
; %bb.2:
	s_ashr_i32 s6, s5, 31
	v_add_nc_u64_e32 v[0:1], 0, v[6:7]
	s_mov_b32 s7, s6
	v_mov_b32_e32 v3, 0
	s_add_nc_u64 s[2:3], s[4:5], s[6:7]
	s_delay_alu instid0(SALU_CYCLE_1) | instskip(NEXT) | instid1(VALU_DEP_2)
	s_xor_b64 s[8:9], s[2:3], s[6:7]
	v_mov_b32_e32 v2, v0
	s_cvt_f32_u32 s2, s8
	s_cvt_f32_u32 s3, s9
	s_sub_nc_u64 s[12:13], 0, s[8:9]
	s_delay_alu instid0(SALU_CYCLE_2) | instskip(NEXT) | instid1(SALU_CYCLE_3)
	s_fmamk_f32 s2, s3, 0x4f800000, s2
	v_s_rcp_f32 s2, s2
	s_delay_alu instid0(TRANS32_DEP_1) | instskip(NEXT) | instid1(SALU_CYCLE_3)
	s_mul_f32 s2, s2, 0x5f7ffffc
	s_mul_f32 s3, s2, 0x2f800000
	s_delay_alu instid0(SALU_CYCLE_3) | instskip(NEXT) | instid1(SALU_CYCLE_3)
	s_trunc_f32 s3, s3
	s_fmamk_f32 s2, s3, 0xcf800000, s2
	s_cvt_u32_f32 s11, s3
	s_mov_b32 s3, 0
	s_delay_alu instid0(SALU_CYCLE_1) | instskip(NEXT) | instid1(SALU_CYCLE_3)
	s_cvt_u32_f32 s10, s2
	s_mul_u64 s[14:15], s[12:13], s[10:11]
	s_delay_alu instid0(SALU_CYCLE_1)
	s_mul_hi_u32 s17, s10, s15
	s_mul_i32 s16, s10, s15
	s_mul_hi_u32 s2, s10, s14
	s_mul_i32 s18, s11, s14
	s_add_nc_u64 s[16:17], s[2:3], s[16:17]
	s_mul_hi_u32 s7, s11, s14
	s_mul_hi_u32 s19, s11, s15
	s_add_co_u32 s2, s16, s18
	s_add_co_ci_u32 s2, s17, s7
	s_mul_i32 s14, s11, s15
	s_add_co_ci_u32 s15, s19, 0
	s_delay_alu instid0(SALU_CYCLE_1) | instskip(NEXT) | instid1(SALU_CYCLE_1)
	s_add_nc_u64 s[14:15], s[2:3], s[14:15]
	s_add_co_u32 s10, s10, s14
	s_cselect_b32 s2, -1, 0
	s_delay_alu instid0(SALU_CYCLE_1) | instskip(SKIP_1) | instid1(SALU_CYCLE_1)
	s_cmp_lg_u32 s2, 0
	s_add_co_ci_u32 s11, s11, s15
	s_mul_u64 s[12:13], s[12:13], s[10:11]
	s_delay_alu instid0(SALU_CYCLE_1)
	s_mul_hi_u32 s15, s10, s13
	s_mul_i32 s14, s10, s13
	s_mul_hi_u32 s2, s10, s12
	s_mul_i32 s16, s11, s12
	s_add_nc_u64 s[14:15], s[2:3], s[14:15]
	s_mul_hi_u32 s7, s11, s12
	s_mul_hi_u32 s17, s11, s13
	s_add_co_u32 s2, s14, s16
	s_add_co_ci_u32 s2, s15, s7
	s_mul_i32 s12, s11, s13
	s_add_co_ci_u32 s13, s17, 0
	s_delay_alu instid0(SALU_CYCLE_1) | instskip(NEXT) | instid1(SALU_CYCLE_1)
	s_add_nc_u64 s[12:13], s[2:3], s[12:13]
	s_add_co_u32 s10, s10, s12
	s_cselect_b32 s2, -1, 0
	s_delay_alu instid0(SALU_CYCLE_1)
	s_cmp_lg_u32 s2, 0
	s_add_co_ci_u32 s2, s11, s13
	s_mov_b64 s[12:13], 0xffffffff
	v_nop
	v_mul_u64_e32 v[4:5], s[2:3], v[2:3]
	v_mul_hi_u32 v2, v0, s10
	s_and_b64 s[10:11], s[10:11], s[12:13]
	s_delay_alu instid0(VALU_DEP_1) | instskip(SKIP_1) | instid1(VALU_DEP_1)
	v_add_nc_u64_e32 v[4:5], v[2:3], v[4:5]
	v_mov_b32_e32 v2, v1
	v_mul_u64_e32 v[8:9], s[10:11], v[2:3]
	v_mul_u64_e32 v[10:11], s[2:3], v[2:3]
	s_delay_alu instid0(VALU_DEP_2) | instskip(NEXT) | instid1(VALU_DEP_3)
	v_add_co_u32 v2, vcc_lo, v4, v8
	v_add_co_ci_u32_e32 v2, vcc_lo, v5, v9, vcc_lo
	s_delay_alu instid0(VALU_DEP_3) | instskip(NEXT) | instid1(VALU_DEP_1)
	v_add_co_ci_u32_e32 v11, vcc_lo, 0, v11, vcc_lo
	v_add_nc_u64_e32 v[2:3], v[2:3], v[10:11]
	s_delay_alu instid0(VALU_DEP_1) | instskip(NEXT) | instid1(VALU_DEP_1)
	v_mul_u64_e32 v[4:5], s[8:9], v[2:3]
	v_sub_nc_u32_e32 v8, v1, v5
	s_delay_alu instid0(VALU_DEP_2) | instskip(NEXT) | instid1(VALU_DEP_1)
	v_sub_co_u32 v0, vcc_lo, v0, v4
	v_sub_co_ci_u32_e64 v5, null, v1, v5, vcc_lo
	s_delay_alu instid0(VALU_DEP_3) | instskip(NEXT) | instid1(VALU_DEP_3)
	v_subrev_co_ci_u32_e64 v4, null, s9, v8, vcc_lo
	v_sub_co_u32 v10, s2, v0, s8
	v_cmp_le_u32_e32 vcc_lo, s8, v0
	s_delay_alu instid0(VALU_DEP_3) | instskip(NEXT) | instid1(VALU_DEP_3)
	v_subrev_co_ci_u32_e64 v4, null, 0, v4, s2
	v_cmp_le_u32_e64 s2, s8, v10
	v_add_nc_u64_e32 v[8:9], 2, v[2:3]
	v_cndmask_b32_e64 v12, 0, -1, vcc_lo
	s_delay_alu instid0(VALU_DEP_4) | instskip(SKIP_3) | instid1(VALU_DEP_1)
	v_cmp_eq_u32_e32 vcc_lo, s9, v4
	v_add_nc_u64_e32 v[0:1], 1, v[2:3]
	v_cndmask_b32_e64 v10, 0, -1, s2
	v_cmp_le_u32_e64 s2, s9, v4
	v_cndmask_b32_e64 v11, 0, -1, s2
	v_cmp_eq_u32_e64 s2, s9, v5
	s_delay_alu instid0(VALU_DEP_2) | instskip(SKIP_2) | instid1(VALU_DEP_3)
	v_cndmask_b32_e32 v4, v11, v10, vcc_lo
	v_cmp_le_u32_e32 vcc_lo, s9, v5
	v_cndmask_b32_e64 v10, 0, -1, vcc_lo
	v_cmp_ne_u32_e32 vcc_lo, 0, v4
	s_delay_alu instid0(VALU_DEP_2) | instskip(SKIP_1) | instid1(VALU_DEP_2)
	v_dual_cndmask_b32 v1, v1, v9, vcc_lo :: v_dual_cndmask_b32 v4, v10, v12, s2
	v_cndmask_b32_e32 v0, v0, v8, vcc_lo
	v_cmp_ne_u32_e32 vcc_lo, 0, v4
	s_delay_alu instid0(VALU_DEP_3) | instskip(NEXT) | instid1(VALU_DEP_3)
	v_dual_cndmask_b32 v3, v3, v1, vcc_lo :: v_dual_mov_b32 v1, s6
	v_dual_cndmask_b32 v2, v2, v0, vcc_lo :: v_dual_mov_b32 v0, s6
	s_delay_alu instid0(VALU_DEP_2) | instskip(NEXT) | instid1(VALU_DEP_2)
	v_xor_b32_e32 v3, s6, v3
	v_xor_b32_e32 v2, s6, v2
	s_delay_alu instid0(VALU_DEP_1)
	v_sub_nc_u64_e32 v[0:1], v[2:3], v[0:1]
	s_cbranch_execnz .LBB2_4
.LBB2_3:
	v_cvt_f32_u32_e32 v0, s4
	s_sub_co_i32 s2, 0, s4
	s_delay_alu instid0(VALU_DEP_1) | instskip(SKIP_1) | instid1(TRANS32_DEP_1)
	v_rcp_iflag_f32_e32 v0, v0
	v_nop
	v_mul_f32_e32 v0, 0x4f7ffffe, v0
	s_delay_alu instid0(VALU_DEP_1) | instskip(NEXT) | instid1(VALU_DEP_1)
	v_cvt_u32_f32_e32 v0, v0
	v_mul_lo_u32 v1, s2, v0
	s_delay_alu instid0(VALU_DEP_1) | instskip(NEXT) | instid1(VALU_DEP_1)
	v_mul_hi_u32 v1, v0, v1
	v_add_nc_u32_e32 v0, v0, v1
	s_delay_alu instid0(VALU_DEP_1) | instskip(NEXT) | instid1(VALU_DEP_1)
	v_mul_hi_u32 v0, v6, v0
	v_mul_lo_u32 v1, v0, s4
	s_delay_alu instid0(VALU_DEP_1) | instskip(NEXT) | instid1(VALU_DEP_1)
	v_dual_add_nc_u32 v2, 1, v0 :: v_dual_sub_nc_u32 v1, v6, v1
	v_subrev_nc_u32_e32 v3, s4, v1
	v_cmp_le_u32_e32 vcc_lo, s4, v1
	s_delay_alu instid0(VALU_DEP_2) | instskip(NEXT) | instid1(VALU_DEP_1)
	v_dual_cndmask_b32 v1, v1, v3 :: v_dual_cndmask_b32 v0, v0, v2
	v_cmp_le_u32_e32 vcc_lo, s4, v1
	s_delay_alu instid0(VALU_DEP_2) | instskip(NEXT) | instid1(VALU_DEP_1)
	v_dual_mov_b32 v1, 0 :: v_dual_add_nc_u32 v2, 1, v0
	v_cndmask_b32_e32 v0, v0, v2, vcc_lo
.LBB2_4:
	s_load_b128 s[28:31], s[0:1], 0x60
	s_bfe_u32 s2, ttmp6, 0x40010
	s_and_b32 s3, ttmp7, 0xffff
	s_add_co_i32 s2, s2, 1
	s_bfe_u32 s6, ttmp6, 0x40004
	s_mul_i32 s2, s3, s2
	s_mov_b32 s49, 0
	s_add_co_i32 s6, s6, s2
	s_cmp_eq_u32 s33, 0
	s_cselect_b32 s48, s3, s6
	s_wait_kmcnt 0x0
	v_cmp_le_i64_e64 s2, s[30:31], s[48:49]
	s_and_b32 vcc_lo, exec_lo, s2
	s_cbranch_vccnz .LBB2_39
; %bb.5:
	s_load_b64 s[50:51], s[0:1], 0x50
	s_wait_kmcnt 0x0
	s_and_b64 s[2:3], s[50:51], 0xffffffff00000000
	s_delay_alu instid0(SALU_CYCLE_1)
	s_cmp_lg_u64 s[2:3], 0
	s_cbranch_scc0 .LBB2_41
; %bb.6:
	s_ashr_i32 s2, s51, 31
	v_add_nc_u64_e32 v[2:3], 0, v[6:7]
	s_mov_b32 s3, s2
	v_mov_b32_e32 v5, 0
	s_add_nc_u64 s[6:7], s[50:51], s[2:3]
	s_delay_alu instid0(SALU_CYCLE_1) | instskip(NEXT) | instid1(VALU_DEP_2)
	s_xor_b64 s[6:7], s[6:7], s[2:3]
	v_mov_b32_e32 v4, v2
	s_cvt_f32_u32 s2, s6
	s_cvt_f32_u32 s3, s7
	s_sub_nc_u64 s[10:11], 0, s[6:7]
	s_delay_alu instid0(SALU_CYCLE_2) | instskip(NEXT) | instid1(SALU_CYCLE_3)
	s_fmamk_f32 s2, s3, 0x4f800000, s2
	v_s_rcp_f32 s2, s2
	s_delay_alu instid0(TRANS32_DEP_1) | instskip(NEXT) | instid1(SALU_CYCLE_3)
	s_mul_f32 s2, s2, 0x5f7ffffc
	s_mul_f32 s3, s2, 0x2f800000
	s_delay_alu instid0(SALU_CYCLE_3) | instskip(NEXT) | instid1(SALU_CYCLE_3)
	s_trunc_f32 s3, s3
	s_fmamk_f32 s2, s3, 0xcf800000, s2
	s_cvt_u32_f32 s9, s3
	s_mov_b32 s3, 0
	s_delay_alu instid0(SALU_CYCLE_1) | instskip(NEXT) | instid1(SALU_CYCLE_3)
	s_cvt_u32_f32 s8, s2
	s_mul_u64 s[12:13], s[10:11], s[8:9]
	s_delay_alu instid0(SALU_CYCLE_1)
	s_mul_hi_u32 s15, s8, s13
	s_mul_i32 s14, s8, s13
	s_mul_hi_u32 s2, s8, s12
	s_mul_i32 s17, s9, s12
	s_add_nc_u64 s[14:15], s[2:3], s[14:15]
	s_mul_hi_u32 s16, s9, s12
	s_mul_hi_u32 s18, s9, s13
	s_add_co_u32 s2, s14, s17
	s_add_co_ci_u32 s2, s15, s16
	s_mul_i32 s12, s9, s13
	s_add_co_ci_u32 s13, s18, 0
	s_delay_alu instid0(SALU_CYCLE_1) | instskip(NEXT) | instid1(SALU_CYCLE_1)
	s_add_nc_u64 s[12:13], s[2:3], s[12:13]
	s_add_co_u32 s8, s8, s12
	s_cselect_b32 s2, -1, 0
	s_delay_alu instid0(SALU_CYCLE_1) | instskip(SKIP_1) | instid1(SALU_CYCLE_1)
	s_cmp_lg_u32 s2, 0
	s_add_co_ci_u32 s9, s9, s13
	s_mul_u64 s[10:11], s[10:11], s[8:9]
	s_delay_alu instid0(SALU_CYCLE_1)
	s_mul_hi_u32 s13, s8, s11
	s_mul_i32 s12, s8, s11
	s_mul_hi_u32 s2, s8, s10
	s_mul_i32 s15, s9, s10
	s_add_nc_u64 s[12:13], s[2:3], s[12:13]
	s_mul_hi_u32 s14, s9, s10
	s_mul_hi_u32 s16, s9, s11
	s_add_co_u32 s2, s12, s15
	s_add_co_ci_u32 s2, s13, s14
	s_mul_i32 s10, s9, s11
	s_add_co_ci_u32 s11, s16, 0
	s_delay_alu instid0(SALU_CYCLE_1) | instskip(NEXT) | instid1(SALU_CYCLE_1)
	s_add_nc_u64 s[10:11], s[2:3], s[10:11]
	s_add_co_u32 s8, s8, s10
	s_cselect_b32 s2, -1, 0
	s_delay_alu instid0(SALU_CYCLE_1)
	s_cmp_lg_u32 s2, 0
	s_add_co_ci_u32 s2, s9, s11
	s_mov_b64 s[10:11], 0xffffffff
	v_nop
	v_mul_u64_e32 v[8:9], s[2:3], v[4:5]
	v_mul_hi_u32 v4, v2, s8
	s_and_b64 s[8:9], s[8:9], s[10:11]
	s_delay_alu instid0(VALU_DEP_1) | instskip(SKIP_1) | instid1(VALU_DEP_1)
	v_add_nc_u64_e32 v[8:9], v[4:5], v[8:9]
	v_mov_b32_e32 v4, v3
	v_mul_u64_e32 v[10:11], s[8:9], v[4:5]
	v_mul_u64_e32 v[12:13], s[2:3], v[4:5]
	s_delay_alu instid0(VALU_DEP_2) | instskip(NEXT) | instid1(VALU_DEP_3)
	v_add_co_u32 v4, vcc_lo, v8, v10
	v_add_co_ci_u32_e32 v4, vcc_lo, v9, v11, vcc_lo
	s_delay_alu instid0(VALU_DEP_3) | instskip(NEXT) | instid1(VALU_DEP_1)
	v_add_co_ci_u32_e32 v13, vcc_lo, 0, v13, vcc_lo
	v_add_nc_u64_e32 v[4:5], v[4:5], v[12:13]
	s_delay_alu instid0(VALU_DEP_1) | instskip(NEXT) | instid1(VALU_DEP_1)
	v_mul_u64_e32 v[4:5], s[6:7], v[4:5]
	v_sub_nc_u32_e32 v8, v3, v5
	s_delay_alu instid0(VALU_DEP_2) | instskip(NEXT) | instid1(VALU_DEP_1)
	v_sub_co_u32 v2, vcc_lo, v2, v4
	v_sub_co_ci_u32_e64 v3, null, v3, v5, vcc_lo
	s_delay_alu instid0(VALU_DEP_3) | instskip(NEXT) | instid1(VALU_DEP_3)
	v_subrev_co_ci_u32_e64 v4, null, s7, v8, vcc_lo
	v_sub_co_u32 v5, vcc_lo, v2, s6
	v_cmp_le_u32_e64 s2, s6, v2
	s_delay_alu instid0(VALU_DEP_3) | instskip(SKIP_1) | instid1(VALU_DEP_3)
	v_subrev_co_ci_u32_e64 v8, null, 0, v4, vcc_lo
	v_subrev_co_ci_u32_e64 v4, null, s7, v4, vcc_lo
	v_cndmask_b32_e64 v9, 0, -1, s2
	v_cmp_le_u32_e64 s2, s6, v5
	v_cmp_le_u32_e32 vcc_lo, s7, v3
	s_delay_alu instid0(VALU_DEP_2) | instskip(SKIP_3) | instid1(VALU_DEP_3)
	v_cndmask_b32_e64 v10, 0, -1, s2
	v_cmp_le_u32_e64 s2, s7, v8
	v_cndmask_b32_e64 v12, 0, -1, vcc_lo
	v_cmp_eq_u32_e32 vcc_lo, s7, v8
	v_cndmask_b32_e64 v11, 0, -1, s2
	v_cmp_eq_u32_e64 s2, s7, v3
	s_delay_alu instid0(VALU_DEP_1) | instskip(SKIP_1) | instid1(VALU_DEP_1)
	v_dual_cndmask_b32 v10, v11, v10, vcc_lo :: v_dual_cndmask_b32 v9, v12, v9, s2
	v_sub_co_u32 v11, vcc_lo, v5, s6
	v_subrev_co_ci_u32_e64 v4, null, 0, v4, vcc_lo
	s_delay_alu instid0(VALU_DEP_3) | instskip(NEXT) | instid1(VALU_DEP_2)
	v_cmp_ne_u32_e32 vcc_lo, 0, v10
	v_dual_cndmask_b32 v4, v8, v4 :: v_dual_cndmask_b32 v5, v5, v11
	v_cmp_ne_u32_e32 vcc_lo, 0, v9
	s_delay_alu instid0(VALU_DEP_2) | instskip(NEXT) | instid1(VALU_DEP_1)
	v_dual_cndmask_b32 v3, v3, v4 :: v_dual_cndmask_b32 v2, v2, v5
	v_sub_nc_u64_e64 v[2:3], v[2:3], 0
	v_cvt_f32_u32_e32 v16, s50
	s_cbranch_execnz .LBB2_8
.LBB2_7:
	s_delay_alu instid0(VALU_DEP_1) | instskip(SKIP_2) | instid1(TRANS32_DEP_1)
	v_rcp_iflag_f32_e32 v2, v16
	s_sub_co_i32 s2, 0, s50
	v_nop
	v_mul_f32_e32 v2, 0x4f7ffffe, v2
	s_delay_alu instid0(VALU_DEP_1) | instskip(NEXT) | instid1(VALU_DEP_1)
	v_cvt_u32_f32_e32 v2, v2
	v_mul_lo_u32 v3, s2, v2
	s_delay_alu instid0(VALU_DEP_1) | instskip(NEXT) | instid1(VALU_DEP_1)
	v_mul_hi_u32 v3, v2, v3
	v_add_nc_u32_e32 v2, v2, v3
	s_delay_alu instid0(VALU_DEP_1) | instskip(NEXT) | instid1(VALU_DEP_1)
	v_mul_hi_u32 v2, v6, v2
	v_mul_lo_u32 v2, v2, s50
	s_delay_alu instid0(VALU_DEP_1) | instskip(NEXT) | instid1(VALU_DEP_1)
	v_sub_nc_u32_e32 v2, v6, v2
	v_subrev_nc_u32_e32 v3, s50, v2
	v_cmp_le_u32_e32 vcc_lo, s50, v2
	s_delay_alu instid0(VALU_DEP_2) | instskip(NEXT) | instid1(VALU_DEP_1)
	v_cndmask_b32_e32 v2, v2, v3, vcc_lo
	v_subrev_nc_u32_e32 v3, s50, v2
	v_cmp_le_u32_e32 vcc_lo, s50, v2
	s_delay_alu instid0(VALU_DEP_2)
	v_dual_cndmask_b32 v2, v2, v3 :: v_dual_mov_b32 v3, 0
.LBB2_8:
	v_mul_u64_e32 v[4:5], s[4:5], v[0:1]
	s_load_b64 s[4:5], s[0:1], 0x88
	s_mov_b32 s2, exec_lo
	v_mov_b32_e32 v8, 0
	s_delay_alu instid0(VALU_DEP_2) | instskip(SKIP_1) | instid1(VALU_DEP_1)
	v_sub_nc_u64_e32 v[10:11], v[6:7], v[4:5]
                                        ; implicit-def: $vgpr6_vgpr7
	s_wait_kmcnt 0x0
	v_or_b32_e32 v9, s5, v11
	s_delay_alu instid0(VALU_DEP_1)
	v_cmpx_ne_u64_e32 0, v[8:9]
	s_xor_b32 s3, exec_lo, s2
	s_cbranch_execz .LBB2_10
; %bb.9:
	s_ashr_i32 s6, s5, 31
	s_mov_b32 s17, 0
	s_mov_b32 s7, s6
	v_dual_mov_b32 v15, v8 :: v_dual_ashrrev_i32 v6, 31, v11
	s_add_nc_u64 s[8:9], s[4:5], s[6:7]
	v_dual_mov_b32 v25, v8 :: v_dual_mov_b32 v9, v8
	s_xor_b64 s[8:9], s[8:9], s[6:7]
	s_delay_alu instid0(VALU_DEP_2) | instskip(SKIP_3) | instid1(VALU_DEP_1)
	v_mov_b32_e32 v7, v6
	s_cvt_f32_u32 s2, s8
	s_cvt_f32_u32 s7, s9
	s_sub_nc_u64 s[12:13], 0, s[8:9]
	v_add_nc_u64_e32 v[12:13], v[10:11], v[6:7]
	s_delay_alu instid0(SALU_CYCLE_1) | instskip(SKIP_1) | instid1(SALU_CYCLE_2)
	s_fmamk_f32 s2, s7, 0x4f800000, s2
	v_mov_b32_e32 v19, v8
	v_s_rcp_f32 s2, s2
	s_delay_alu instid0(VALU_DEP_2) | instskip(NEXT) | instid1(VALU_DEP_3)
	v_xor_b32_e32 v14, v12, v6
	v_xor_b32_e32 v18, v13, v6
	;; [unrolled: 1-line block ×3, first 2 shown]
	s_delay_alu instid0(TRANS32_DEP_1) | instskip(NEXT) | instid1(SALU_CYCLE_3)
	s_mul_f32 s2, s2, 0x5f7ffffc
	s_mul_f32 s7, s2, 0x2f800000
	s_delay_alu instid0(SALU_CYCLE_3) | instskip(NEXT) | instid1(SALU_CYCLE_3)
	s_trunc_f32 s7, s7
	s_fmamk_f32 s2, s7, 0xcf800000, s2
	s_cvt_u32_f32 s11, s7
	s_delay_alu instid0(SALU_CYCLE_2) | instskip(NEXT) | instid1(SALU_CYCLE_3)
	s_cvt_u32_f32 s10, s2
	s_mul_u64 s[14:15], s[12:13], s[10:11]
	s_delay_alu instid0(SALU_CYCLE_1)
	s_mul_hi_u32 s19, s10, s15
	s_mul_i32 s18, s10, s15
	s_mul_hi_u32 s16, s10, s14
	s_mul_i32 s7, s11, s14
	s_add_nc_u64 s[18:19], s[16:17], s[18:19]
	s_mul_hi_u32 s2, s11, s14
	s_mul_hi_u32 s20, s11, s15
	s_add_co_u32 s7, s18, s7
	s_add_co_ci_u32 s16, s19, s2
	s_mul_i32 s14, s11, s15
	s_add_co_ci_u32 s15, s20, 0
	s_delay_alu instid0(SALU_CYCLE_1) | instskip(NEXT) | instid1(SALU_CYCLE_1)
	s_add_nc_u64 s[14:15], s[16:17], s[14:15]
	s_add_co_u32 s10, s10, s14
	s_cselect_b32 s2, -1, 0
	s_delay_alu instid0(SALU_CYCLE_1) | instskip(SKIP_1) | instid1(SALU_CYCLE_1)
	s_cmp_lg_u32 s2, 0
	s_add_co_ci_u32 s11, s11, s15
	s_mul_u64 s[12:13], s[12:13], s[10:11]
	s_delay_alu instid0(SALU_CYCLE_1)
	s_mul_hi_u32 s15, s10, s13
	s_mul_i32 s14, s10, s13
	s_mul_hi_u32 s16, s10, s12
	s_mul_i32 s7, s11, s12
	s_add_nc_u64 s[14:15], s[16:17], s[14:15]
	s_mul_hi_u32 s2, s11, s12
	s_mul_hi_u32 s18, s11, s13
	s_add_co_u32 s7, s14, s7
	s_add_co_ci_u32 s16, s15, s2
	s_mul_i32 s12, s11, s13
	s_add_co_ci_u32 s13, s18, 0
	s_delay_alu instid0(SALU_CYCLE_1) | instskip(NEXT) | instid1(SALU_CYCLE_1)
	s_add_nc_u64 s[12:13], s[16:17], s[12:13]
	s_add_co_u32 s2, s10, s12
	s_cselect_b32 s7, -1, 0
	v_mul_hi_u32 v24, v14, s2
	s_cmp_lg_u32 s7, 0
	s_add_co_ci_u32 s16, s11, s13
	s_mov_b64 s[10:11], 0xffffffff
	v_mul_u64_e32 v[20:21], s[16:17], v[14:15]
	s_and_b64 s[10:11], s[2:3], s[10:11]
	v_mul_u64_e32 v[22:23], s[16:17], v[18:19]
	v_mul_u64_e32 v[12:13], s[10:11], v[18:19]
	s_delay_alu instid0(VALU_DEP_3) | instskip(NEXT) | instid1(VALU_DEP_1)
	v_add_nc_u64_e32 v[20:21], v[24:25], v[20:21]
	v_add_co_u32 v7, vcc_lo, v20, v12
	s_delay_alu instid0(VALU_DEP_2) | instskip(SKIP_1) | instid1(VALU_DEP_1)
	v_add_co_ci_u32_e32 v8, vcc_lo, v21, v13, vcc_lo
	v_add_co_ci_u32_e32 v23, vcc_lo, 0, v23, vcc_lo
	v_add_nc_u64_e32 v[8:9], v[8:9], v[22:23]
	s_delay_alu instid0(VALU_DEP_1) | instskip(NEXT) | instid1(VALU_DEP_1)
	v_mul_u64_e32 v[12:13], s[8:9], v[8:9]
	v_sub_nc_u32_e32 v7, v18, v13
	s_delay_alu instid0(VALU_DEP_2) | instskip(NEXT) | instid1(VALU_DEP_1)
	v_sub_co_u32 v12, vcc_lo, v14, v12
	v_sub_co_ci_u32_e64 v17, null, v18, v13, vcc_lo
	s_delay_alu instid0(VALU_DEP_3) | instskip(NEXT) | instid1(VALU_DEP_3)
	v_subrev_co_ci_u32_e64 v7, null, s9, v7, vcc_lo
	v_sub_co_u32 v14, s2, v12, s8
	s_delay_alu instid0(VALU_DEP_1) | instskip(NEXT) | instid1(VALU_DEP_2)
	v_subrev_co_ci_u32_e64 v7, null, 0, v7, s2
	v_cmp_le_u32_e32 vcc_lo, s8, v14
	v_cndmask_b32_e64 v13, 0, -1, vcc_lo
	s_delay_alu instid0(VALU_DEP_3)
	v_cmp_le_u32_e32 vcc_lo, s9, v7
	v_cndmask_b32_e64 v14, 0, -1, vcc_lo
	v_cmp_le_u32_e32 vcc_lo, s8, v12
	v_cndmask_b32_e64 v18, 0, -1, vcc_lo
	;; [unrolled: 2-line block ×3, first 2 shown]
	v_cmp_eq_u32_e32 vcc_lo, s9, v7
	v_cndmask_b32_e32 v7, v14, v13, vcc_lo
	v_cmp_eq_u32_e32 vcc_lo, s9, v17
	v_add_nc_u64_e32 v[12:13], 2, v[8:9]
	v_add_nc_u64_e32 v[14:15], 1, v[8:9]
	v_cndmask_b32_e32 v17, v19, v18, vcc_lo
	v_cmp_ne_u32_e32 vcc_lo, 0, v7
	s_delay_alu instid0(VALU_DEP_2) | instskip(NEXT) | instid1(VALU_DEP_4)
	v_cmp_ne_u32_e64 s2, 0, v17
	v_dual_cndmask_b32 v7, v15, v13 :: v_dual_cndmask_b32 v12, v14, v12
	s_delay_alu instid0(VALU_DEP_1) | instskip(NEXT) | instid1(VALU_DEP_1)
	v_dual_cndmask_b32 v9, v9, v7, s2 :: v_dual_cndmask_b32 v8, v8, v12, s2
	v_dual_mov_b32 v7, v6 :: v_dual_bitop2_b32 v9, v9, v6 bitop3:0x14
	s_delay_alu instid0(VALU_DEP_2) | instskip(NEXT) | instid1(VALU_DEP_1)
	v_xor_b32_e32 v8, v8, v6
	v_sub_nc_u64_e32 v[6:7], v[8:9], v[6:7]
.LBB2_10:
	s_and_not1_saveexec_b32 s2, s3
	s_cbranch_execz .LBB2_12
; %bb.11:
	v_cvt_f32_u32_e32 v6, s4
	s_sub_co_i32 s3, 0, s4
	s_delay_alu instid0(VALU_DEP_1) | instskip(SKIP_1) | instid1(TRANS32_DEP_1)
	v_rcp_iflag_f32_e32 v6, v6
	v_nop
	v_mul_f32_e32 v6, 0x4f7ffffe, v6
	s_delay_alu instid0(VALU_DEP_1) | instskip(NEXT) | instid1(VALU_DEP_1)
	v_cvt_u32_f32_e32 v6, v6
	v_mul_lo_u32 v7, s3, v6
	s_delay_alu instid0(VALU_DEP_1) | instskip(NEXT) | instid1(VALU_DEP_1)
	v_mul_hi_u32 v7, v6, v7
	v_add_nc_u32_e32 v6, v6, v7
	s_delay_alu instid0(VALU_DEP_1) | instskip(NEXT) | instid1(VALU_DEP_1)
	v_mul_hi_u32 v6, v10, v6
	v_mul_lo_u32 v7, v6, s4
	s_delay_alu instid0(VALU_DEP_1) | instskip(NEXT) | instid1(VALU_DEP_1)
	v_dual_add_nc_u32 v8, 1, v6 :: v_dual_sub_nc_u32 v7, v10, v7
	v_subrev_nc_u32_e32 v9, s4, v7
	v_cmp_le_u32_e32 vcc_lo, s4, v7
	s_delay_alu instid0(VALU_DEP_2) | instskip(NEXT) | instid1(VALU_DEP_1)
	v_dual_cndmask_b32 v7, v7, v9 :: v_dual_cndmask_b32 v6, v6, v8
	v_cmp_le_u32_e32 vcc_lo, s4, v7
	s_delay_alu instid0(VALU_DEP_2) | instskip(NEXT) | instid1(VALU_DEP_1)
	v_dual_mov_b32 v7, 0 :: v_dual_add_nc_u32 v8, 1, v6
	v_cndmask_b32_e32 v6, v6, v8, vcc_lo
.LBB2_12:
	s_or_b32 exec_lo, exec_lo, s2
	s_delay_alu instid0(VALU_DEP_1) | instskip(SKIP_2) | instid1(VALU_DEP_2)
	v_mul_u64_e32 v[8:9], s[4:5], v[6:7]
	s_mov_b32 s2, exec_lo
	v_mov_b32_e32 v12, 0
	v_sub_nc_u64_e32 v[14:15], v[10:11], v[8:9]
                                        ; implicit-def: $vgpr10_vgpr11
	s_delay_alu instid0(VALU_DEP_1) | instskip(NEXT) | instid1(VALU_DEP_1)
	v_or_b32_e32 v13, s51, v15
	v_cmpx_ne_u64_e32 0, v[12:13]
	s_xor_b32 s3, exec_lo, s2
	s_cbranch_execz .LBB2_14
; %bb.13:
	s_ashr_i32 s4, s51, 31
	s_mov_b32 s15, 0
	s_mov_b32 s5, s4
	v_dual_mov_b32 v17, v12 :: v_dual_ashrrev_i32 v10, 31, v15
	s_add_nc_u64 s[6:7], s[50:51], s[4:5]
	v_mov_b32_e32 v19, v12
	s_xor_b64 s[6:7], s[6:7], s[4:5]
	s_delay_alu instid0(VALU_DEP_2)
	v_mov_b32_e32 v11, v10
	s_cvt_f32_u32 s2, s6
	s_cvt_f32_u32 s5, s7
	s_sub_nc_u64 s[10:11], 0, s[6:7]
	v_mov_b32_e32 v25, v12
	v_add_nc_u64_e32 v[14:15], v[14:15], v[10:11]
	s_fmamk_f32 s2, s5, 0x4f800000, s2
	v_mov_b32_e32 v13, v12
	s_delay_alu instid0(SALU_CYCLE_2) | instskip(NEXT) | instid1(VALU_DEP_2)
	v_s_rcp_f32 s2, s2
	v_xor_b32_e32 v16, v14, v10
	s_delay_alu instid0(VALU_DEP_3) | instskip(SKIP_1) | instid1(TRANS32_DEP_1)
	v_xor_b32_e32 v18, v15, v10
	v_xor_b32_e32 v10, s4, v10
	s_mul_f32 s2, s2, 0x5f7ffffc
	s_delay_alu instid0(SALU_CYCLE_3) | instskip(NEXT) | instid1(SALU_CYCLE_3)
	s_mul_f32 s5, s2, 0x2f800000
	s_trunc_f32 s5, s5
	s_delay_alu instid0(SALU_CYCLE_3) | instskip(SKIP_1) | instid1(SALU_CYCLE_2)
	s_fmamk_f32 s2, s5, 0xcf800000, s2
	s_cvt_u32_f32 s9, s5
	s_cvt_u32_f32 s8, s2
	s_delay_alu instid0(SALU_CYCLE_3) | instskip(NEXT) | instid1(SALU_CYCLE_1)
	s_mul_u64 s[12:13], s[10:11], s[8:9]
	s_mul_hi_u32 s17, s8, s13
	s_mul_i32 s16, s8, s13
	s_mul_hi_u32 s14, s8, s12
	s_mul_i32 s5, s9, s12
	s_add_nc_u64 s[16:17], s[14:15], s[16:17]
	s_mul_hi_u32 s2, s9, s12
	s_mul_hi_u32 s18, s9, s13
	s_add_co_u32 s5, s16, s5
	s_add_co_ci_u32 s14, s17, s2
	s_mul_i32 s12, s9, s13
	s_add_co_ci_u32 s13, s18, 0
	s_delay_alu instid0(SALU_CYCLE_1) | instskip(NEXT) | instid1(SALU_CYCLE_1)
	s_add_nc_u64 s[12:13], s[14:15], s[12:13]
	s_add_co_u32 s8, s8, s12
	s_cselect_b32 s2, -1, 0
	s_delay_alu instid0(SALU_CYCLE_1) | instskip(SKIP_1) | instid1(SALU_CYCLE_1)
	s_cmp_lg_u32 s2, 0
	s_add_co_ci_u32 s9, s9, s13
	s_mul_u64 s[10:11], s[10:11], s[8:9]
	s_delay_alu instid0(SALU_CYCLE_1)
	s_mul_hi_u32 s13, s8, s11
	s_mul_i32 s12, s8, s11
	s_mul_hi_u32 s14, s8, s10
	s_mul_i32 s5, s9, s10
	s_add_nc_u64 s[12:13], s[14:15], s[12:13]
	s_mul_hi_u32 s2, s9, s10
	s_mul_hi_u32 s16, s9, s11
	s_add_co_u32 s5, s12, s5
	s_add_co_ci_u32 s14, s13, s2
	s_mul_i32 s10, s9, s11
	s_add_co_ci_u32 s11, s16, 0
	s_delay_alu instid0(SALU_CYCLE_1) | instskip(NEXT) | instid1(SALU_CYCLE_1)
	s_add_nc_u64 s[10:11], s[14:15], s[10:11]
	s_add_co_u32 s2, s8, s10
	s_cselect_b32 s5, -1, 0
	v_mul_hi_u32 v24, v16, s2
	s_cmp_lg_u32 s5, 0
	s_add_co_ci_u32 s14, s9, s11
	s_mov_b64 s[8:9], 0xffffffff
	v_mul_u64_e32 v[20:21], s[14:15], v[16:17]
	s_and_b64 s[8:9], s[2:3], s[8:9]
	v_mul_u64_e32 v[22:23], s[14:15], v[18:19]
	v_mul_u64_e32 v[14:15], s[8:9], v[18:19]
	s_delay_alu instid0(VALU_DEP_3) | instskip(NEXT) | instid1(VALU_DEP_1)
	v_add_nc_u64_e32 v[20:21], v[24:25], v[20:21]
	v_add_co_u32 v11, vcc_lo, v20, v14
	s_delay_alu instid0(VALU_DEP_2) | instskip(SKIP_1) | instid1(VALU_DEP_1)
	v_add_co_ci_u32_e32 v12, vcc_lo, v21, v15, vcc_lo
	v_add_co_ci_u32_e32 v23, vcc_lo, 0, v23, vcc_lo
	v_add_nc_u64_e32 v[12:13], v[12:13], v[22:23]
	s_delay_alu instid0(VALU_DEP_1) | instskip(NEXT) | instid1(VALU_DEP_1)
	v_mul_u64_e32 v[14:15], s[6:7], v[12:13]
	v_sub_nc_u32_e32 v11, v18, v15
	s_delay_alu instid0(VALU_DEP_2) | instskip(NEXT) | instid1(VALU_DEP_1)
	v_sub_co_u32 v14, vcc_lo, v16, v14
	v_sub_co_ci_u32_e64 v18, null, v18, v15, vcc_lo
	s_delay_alu instid0(VALU_DEP_3) | instskip(NEXT) | instid1(VALU_DEP_3)
	v_subrev_co_ci_u32_e64 v11, null, s7, v11, vcc_lo
	v_sub_co_u32 v16, s2, v14, s6
	s_delay_alu instid0(VALU_DEP_1) | instskip(NEXT) | instid1(VALU_DEP_2)
	v_subrev_co_ci_u32_e64 v11, null, 0, v11, s2
	v_cmp_le_u32_e32 vcc_lo, s6, v16
	v_cndmask_b32_e64 v15, 0, -1, vcc_lo
	s_delay_alu instid0(VALU_DEP_3)
	v_cmp_le_u32_e32 vcc_lo, s7, v11
	v_cndmask_b32_e64 v16, 0, -1, vcc_lo
	v_cmp_le_u32_e32 vcc_lo, s6, v14
	v_cndmask_b32_e64 v19, 0, -1, vcc_lo
	;; [unrolled: 2-line block ×3, first 2 shown]
	v_cmp_eq_u32_e32 vcc_lo, s7, v11
	v_cndmask_b32_e32 v11, v16, v15, vcc_lo
	v_cmp_eq_u32_e32 vcc_lo, s7, v18
	v_add_nc_u64_e32 v[14:15], 2, v[12:13]
	v_add_nc_u64_e32 v[16:17], 1, v[12:13]
	v_cndmask_b32_e32 v18, v20, v19, vcc_lo
	v_cmp_ne_u32_e32 vcc_lo, 0, v11
	s_delay_alu instid0(VALU_DEP_2) | instskip(NEXT) | instid1(VALU_DEP_4)
	v_cmp_ne_u32_e64 s2, 0, v18
	v_dual_cndmask_b32 v14, v16, v14 :: v_dual_cndmask_b32 v11, v17, v15
                                        ; implicit-def: $vgpr16
	s_delay_alu instid0(VALU_DEP_1) | instskip(SKIP_1) | instid1(VALU_DEP_2)
	v_dual_cndmask_b32 v12, v12, v14, s2 :: v_dual_cndmask_b32 v13, v13, v11, s2
	v_mov_b32_e32 v11, v10
                                        ; implicit-def: $vgpr14_vgpr15
	v_xor_b32_e32 v12, v12, v10
	s_delay_alu instid0(VALU_DEP_3) | instskip(NEXT) | instid1(VALU_DEP_1)
	v_xor_b32_e32 v13, v13, v10
	v_sub_nc_u64_e32 v[10:11], v[12:13], v[10:11]
.LBB2_14:
	s_and_not1_saveexec_b32 s2, s3
	s_cbranch_execz .LBB2_16
; %bb.15:
	v_rcp_iflag_f32_e32 v10, v16
	s_sub_co_i32 s3, 0, s50
	v_nop
	s_delay_alu instid0(TRANS32_DEP_1) | instskip(NEXT) | instid1(VALU_DEP_1)
	v_mul_f32_e32 v10, 0x4f7ffffe, v10
	v_cvt_u32_f32_e32 v10, v10
	s_delay_alu instid0(VALU_DEP_1) | instskip(NEXT) | instid1(VALU_DEP_1)
	v_mul_lo_u32 v11, s3, v10
	v_mul_hi_u32 v11, v10, v11
	s_delay_alu instid0(VALU_DEP_1) | instskip(NEXT) | instid1(VALU_DEP_1)
	v_add_nc_u32_e32 v10, v10, v11
	v_mul_hi_u32 v10, v14, v10
	s_delay_alu instid0(VALU_DEP_1) | instskip(NEXT) | instid1(VALU_DEP_1)
	v_mul_lo_u32 v11, v10, s50
	v_dual_add_nc_u32 v12, 1, v10 :: v_dual_sub_nc_u32 v11, v14, v11
	s_delay_alu instid0(VALU_DEP_1) | instskip(SKIP_1) | instid1(VALU_DEP_2)
	v_subrev_nc_u32_e32 v13, s50, v11
	v_cmp_le_u32_e32 vcc_lo, s50, v11
	v_dual_cndmask_b32 v11, v11, v13 :: v_dual_cndmask_b32 v10, v10, v12
	s_delay_alu instid0(VALU_DEP_1) | instskip(NEXT) | instid1(VALU_DEP_2)
	v_cmp_le_u32_e32 vcc_lo, s50, v11
	v_dual_mov_b32 v11, 0 :: v_dual_add_nc_u32 v12, 1, v10
	s_delay_alu instid0(VALU_DEP_1)
	v_cndmask_b32_e32 v10, v10, v12, vcc_lo
.LBB2_16:
	s_or_b32 exec_lo, exec_lo, s2
	s_clause 0x1
	s_load_b256 s[20:27], s[0:1], 0xf8
	s_load_b32 s36, s[0:1], 0x118
	s_bfe_u32 s3, ttmp6, 0x40014
	s_lshr_b32 s2, ttmp7, 16
	s_add_co_i32 s3, s3, 1
	v_add_nc_u64_e32 v[4:5], v[8:9], v[4:5]
	s_bfe_u32 s37, ttmp6, 0x40008
	s_mul_i32 s3, s2, s3
	s_load_b512 s[4:19], s[0:1], 0xb0
	s_add_co_i32 s37, s37, s3
	s_cmp_eq_u32 s33, 0
	s_mov_b32 s3, 0
	s_cselect_b32 s2, s2, s37
	v_mad_nc_u64_u32 v[4:5], v10, s50, v[4:5]
	v_mov_b32_e32 v20, 0
	s_mov_b64 s[52:53], s[2:3]
	s_wait_kmcnt 0x0
	s_ashr_i32 s39, s26, 31
	s_mov_b32 s38, s26
	s_ashr_i32 s41, s27, 31
	s_mov_b32 s40, s27
	s_ashr_i32 s37, s36, 31
	v_mul_u64_e32 v[8:9], s[38:39], v[2:3]
	v_mul_u64_e32 v[12:13], s[40:41], v[10:11]
	;; [unrolled: 1-line block ×3, first 2 shown]
	v_cvt_f32_u32_e32 v6, s28
	v_mad_u32 v5, v11, s50, v5
	s_clause 0x2
	s_load_b128 s[44:47], s[0:1], 0x0
	s_load_b256 s[36:43], s[0:1], 0x18
	s_load_b64 s[26:27], s[0:1], 0xf0
	s_wait_xcnt 0x0
	s_ashr_i32 s1, s23, 31
	v_rcp_iflag_f32_e32 v6, v6
	s_mov_b32 s0, s23
	s_mov_b32 s50, s24
	s_ashr_i32 s55, s25, 31
	s_mov_b32 s54, s25
	v_cmp_gt_i64_e64 s61, s[10:11], s[2:3]
	s_ashr_i32 s33, s20, 31
	v_mul_f32_e32 v11, 0x4f7ffffe, v6
	v_cvt_f32_u32_e32 v6, s12
	v_mad_u32 v5, v10, s51, v5
	s_ashr_i32 s51, s24, 31
	s_mov_b32 s60, s20
	s_ashr_i32 s23, s21, 31
	v_rcp_iflag_f32_e32 v6, v6
	s_mov_b32 s62, s21
	s_ashr_i32 s63, s22, 31
	s_sub_nc_u64 s[20:21], 0, s[12:13]
	v_nop
	s_delay_alu instid0(TRANS32_DEP_1) | instskip(NEXT) | instid1(VALU_DEP_3)
	v_mul_f32_e32 v10, 0x4f7ffffe, v6
	v_add_nc_u64_e32 v[2:3], v[4:5], v[2:3]
	v_cvt_u32_f32_e32 v22, v11
	v_sub_nc_u64_e64 v[4:5], v[8:9], s[0:1]
	v_sub_nc_u64_e64 v[6:7], v[12:13], s[50:51]
	;; [unrolled: 1-line block ×3, first 2 shown]
	v_cvt_u32_f32_e32 v21, v10
	s_branch .LBB2_18
.LBB2_17:                               ;   in Loop: Header=BB2_18 Depth=1
	s_add_nc_u64 s[48:49], s[48:49], 0xffff
	s_delay_alu instid0(SALU_CYCLE_1)
	v_cmp_ge_i64_e64 s0, s[48:49], s[30:31]
	s_and_b32 vcc_lo, exec_lo, s0
	s_cbranch_vccnz .LBB2_39
.LBB2_18:                               ; =>This Loop Header: Depth=1
                                        ;     Child Loop BB2_21 Depth 2
	s_and_not1_b32 vcc_lo, exec_lo, s61
	s_cbranch_vccnz .LBB2_17
; %bb.19:                               ;   in Loop: Header=BB2_18 Depth=1
	v_mad_nc_u64_u32 v[14:15], s48, s60, v[4:5]
	s_mul_i32 s0, s49, s60
	s_mul_i32 s1, s48, s33
	v_mad_nc_u64_u32 v[12:13], s48, s34, v[2:3]
	s_mul_i32 s2, s49, s34
	s_mul_i32 s24, s48, s35
	s_delay_alu instid0(VALU_DEP_2) | instskip(NEXT) | instid1(VALU_DEP_2)
	v_add3_u32 v15, s1, s0, v15
	v_add3_u32 v13, s24, s2, v13
	s_mov_b64 s[24:25], s[52:53]
	s_wait_kmcnt 0x0
	s_delay_alu instid0(VALU_DEP_2)
	v_mul_u64_e32 v[10:11], s[26:27], v[14:15]
	v_cmp_gt_i64_e64 s0, 0, v[14:15]
	v_cmp_gt_i64_e64 s1, s[42:43], v[14:15]
	s_branch .LBB2_21
.LBB2_20:                               ;   in Loop: Header=BB2_21 Depth=2
	s_wait_xcnt 0x0
	s_or_b32 exec_lo, exec_lo, s2
	s_add_nc_u64 s[24:25], s[24:25], 0xffff
	s_delay_alu instid0(SALU_CYCLE_1)
	v_cmp_ge_i64_e64 s2, s[24:25], s[10:11]
	s_and_b32 vcc_lo, exec_lo, s2
	s_cbranch_vccnz .LBB2_17
.LBB2_21:                               ;   Parent Loop BB2_18 Depth=1
                                        ; =>  This Inner Loop Header: Depth=2
	s_or_b64 s[50:51], s[24:25], s[12:13]
	s_delay_alu instid0(SALU_CYCLE_1) | instskip(NEXT) | instid1(SALU_CYCLE_1)
	s_and_b64 s[50:51], s[50:51], 0xffffffff00000000
	s_cmp_lg_u64 s[50:51], 0
	s_cbranch_scc0 .LBB2_36
; %bb.22:                               ;   in Loop: Header=BB2_21 Depth=2
	s_ashr_i32 s50, s13, 31
	s_delay_alu instid0(SALU_CYCLE_1) | instskip(NEXT) | instid1(SALU_CYCLE_1)
	s_mov_b32 s51, s50
	s_add_nc_u64 s[54:55], s[12:13], s[50:51]
	s_delay_alu instid0(SALU_CYCLE_1) | instskip(NEXT) | instid1(SALU_CYCLE_1)
	s_xor_b64 s[54:55], s[54:55], s[50:51]
	s_cvt_f32_u32 s2, s54
	s_cvt_f32_u32 s56, s55
	s_sub_nc_u64 s[58:59], 0, s[54:55]
	s_delay_alu instid0(SALU_CYCLE_2) | instskip(NEXT) | instid1(SALU_CYCLE_3)
	s_fmamk_f32 s2, s56, 0x4f800000, s2
	v_s_rcp_f32 s2, s2
	s_delay_alu instid0(TRANS32_DEP_1) | instskip(NEXT) | instid1(SALU_CYCLE_3)
	s_mul_f32 s2, s2, 0x5f7ffffc
	s_mul_f32 s56, s2, 0x2f800000
	s_delay_alu instid0(SALU_CYCLE_3) | instskip(NEXT) | instid1(SALU_CYCLE_3)
	s_trunc_f32 s56, s56
	s_fmamk_f32 s2, s56, 0xcf800000, s2
	s_cvt_u32_f32 s57, s56
	s_delay_alu instid0(SALU_CYCLE_2) | instskip(NEXT) | instid1(SALU_CYCLE_3)
	s_cvt_u32_f32 s56, s2
	s_mul_u64 s[64:65], s[58:59], s[56:57]
	s_delay_alu instid0(SALU_CYCLE_1)
	s_mul_hi_u32 s67, s56, s65
	s_mul_i32 s66, s56, s65
	s_mul_hi_u32 s2, s56, s64
	s_mul_i32 s69, s57, s64
	s_add_nc_u64 s[66:67], s[2:3], s[66:67]
	s_mul_hi_u32 s68, s57, s64
	s_mul_hi_u32 s70, s57, s65
	s_add_co_u32 s2, s66, s69
	s_add_co_ci_u32 s2, s67, s68
	s_mul_i32 s64, s57, s65
	s_add_co_ci_u32 s65, s70, 0
	s_delay_alu instid0(SALU_CYCLE_1) | instskip(NEXT) | instid1(SALU_CYCLE_1)
	s_add_nc_u64 s[64:65], s[2:3], s[64:65]
	s_add_co_u32 s56, s56, s64
	s_cselect_b32 s2, -1, 0
	s_delay_alu instid0(SALU_CYCLE_1) | instskip(SKIP_1) | instid1(SALU_CYCLE_1)
	s_cmp_lg_u32 s2, 0
	s_add_co_ci_u32 s57, s57, s65
	s_mul_u64 s[58:59], s[58:59], s[56:57]
	s_delay_alu instid0(SALU_CYCLE_1)
	s_mul_hi_u32 s65, s56, s59
	s_mul_i32 s64, s56, s59
	s_mul_hi_u32 s2, s56, s58
	s_mul_i32 s67, s57, s58
	s_add_nc_u64 s[64:65], s[2:3], s[64:65]
	s_mul_hi_u32 s66, s57, s58
	s_mul_hi_u32 s68, s57, s59
	s_add_co_u32 s2, s64, s67
	s_add_co_ci_u32 s2, s65, s66
	s_mul_i32 s58, s57, s59
	s_add_co_ci_u32 s59, s68, 0
	s_delay_alu instid0(SALU_CYCLE_1) | instskip(NEXT) | instid1(SALU_CYCLE_1)
	s_add_nc_u64 s[58:59], s[2:3], s[58:59]
	s_add_co_u32 s66, s56, s58
	s_cselect_b32 s2, -1, 0
	s_delay_alu instid0(SALU_CYCLE_1) | instskip(SKIP_2) | instid1(SALU_CYCLE_1)
	s_cmp_lg_u32 s2, 0
	s_add_co_ci_u32 s67, s57, s59
	s_ashr_i32 s56, s25, 31
	s_mov_b32 s57, s56
	s_delay_alu instid0(SALU_CYCLE_1) | instskip(NEXT) | instid1(SALU_CYCLE_1)
	s_add_nc_u64 s[58:59], s[24:25], s[56:57]
	s_xor_b64 s[58:59], s[58:59], s[56:57]
	s_delay_alu instid0(SALU_CYCLE_1)
	s_mul_hi_u32 s65, s58, s67
	s_mul_i32 s64, s58, s67
	s_mul_hi_u32 s2, s58, s66
	s_mul_i32 s70, s59, s66
	s_add_nc_u64 s[64:65], s[2:3], s[64:65]
	s_mul_hi_u32 s69, s59, s66
	s_mul_hi_u32 s68, s59, s67
	s_add_co_u32 s2, s64, s70
	s_add_co_ci_u32 s2, s65, s69
	s_mul_i32 s66, s59, s67
	s_add_co_ci_u32 s67, s68, 0
	s_delay_alu instid0(SALU_CYCLE_1) | instskip(NEXT) | instid1(SALU_CYCLE_1)
	s_add_nc_u64 s[64:65], s[2:3], s[66:67]
	s_and_b64 s[66:67], s[64:65], 0xffffffff00000000
	s_delay_alu instid0(SALU_CYCLE_1) | instskip(NEXT) | instid1(SALU_CYCLE_1)
	s_or_b32 s66, s66, s64
	s_mul_u64 s[64:65], s[54:55], s[66:67]
	s_delay_alu instid0(SALU_CYCLE_1)
	s_sub_co_u32 s2, s58, s64
	s_cselect_b32 s58, -1, 0
	s_sub_co_i32 s64, s59, s65
	s_cmp_lg_u32 s58, 0
	s_sub_co_ci_u32 s64, s64, s55
	s_sub_co_u32 s68, s2, s54
	s_cselect_b32 s69, -1, 0
	s_delay_alu instid0(SALU_CYCLE_1) | instskip(SKIP_1) | instid1(SALU_CYCLE_1)
	s_cmp_lg_u32 s69, 0
	s_sub_co_ci_u32 s64, s64, 0
	s_cmp_ge_u32 s64, s55
	s_cselect_b32 s70, -1, 0
	s_cmp_ge_u32 s68, s54
	s_add_nc_u64 s[68:69], s[66:67], 1
	s_cselect_b32 s71, -1, 0
	s_cmp_eq_u32 s64, s55
	s_cselect_b32 s64, s71, s70
	s_add_nc_u64 s[70:71], s[66:67], 2
	s_cmp_lg_u32 s64, 0
	s_cselect_b32 s64, s70, s68
	s_cselect_b32 s68, s71, s69
	s_cmp_lg_u32 s58, 0
	s_sub_co_ci_u32 s58, s59, s65
	s_delay_alu instid0(SALU_CYCLE_1)
	s_cmp_ge_u32 s58, s55
	s_cselect_b32 s59, -1, 0
	s_cmp_ge_u32 s2, s54
	s_cselect_b32 s2, -1, 0
	s_cmp_eq_u32 s58, s55
	s_cselect_b32 s2, s2, s59
	s_delay_alu instid0(SALU_CYCLE_1) | instskip(SKIP_3) | instid1(SALU_CYCLE_1)
	s_cmp_lg_u32 s2, 0
	s_cselect_b32 s55, s68, s67
	s_cselect_b32 s54, s64, s66
	s_xor_b64 s[50:51], s[56:57], s[50:51]
	s_xor_b64 s[54:55], s[54:55], s[50:51]
	s_delay_alu instid0(SALU_CYCLE_1)
	s_sub_nc_u64 s[50:51], s[54:55], s[50:51]
	s_cbranch_execnz .LBB2_24
.LBB2_23:                               ;   in Loop: Header=BB2_21 Depth=2
	v_nop
	v_readfirstlane_b32 s2, v21
	s_sub_co_i32 s50, 0, s12
	s_delay_alu instid0(SALU_CYCLE_1) | instskip(NEXT) | instid1(SALU_CYCLE_1)
	s_mul_i32 s50, s50, s2
	s_mul_hi_u32 s50, s2, s50
	s_delay_alu instid0(SALU_CYCLE_1) | instskip(NEXT) | instid1(SALU_CYCLE_1)
	s_add_co_i32 s2, s2, s50
	s_mul_hi_u32 s2, s24, s2
	s_delay_alu instid0(SALU_CYCLE_1) | instskip(SKIP_2) | instid1(SALU_CYCLE_1)
	s_mul_i32 s50, s2, s12
	s_add_co_i32 s51, s2, 1
	s_sub_co_i32 s50, s24, s50
	s_sub_co_i32 s54, s50, s12
	s_cmp_ge_u32 s50, s12
	s_cselect_b32 s2, s51, s2
	s_cselect_b32 s50, s54, s50
	s_add_co_i32 s51, s2, 1
	s_cmp_ge_u32 s50, s12
	s_cselect_b32 s2, s51, s2
	s_delay_alu instid0(SALU_CYCLE_1)
	s_mov_b64 s[50:51], s[2:3]
.LBB2_24:                               ;   in Loop: Header=BB2_21 Depth=2
	s_delay_alu instid0(SALU_CYCLE_1) | instskip(NEXT) | instid1(SALU_CYCLE_1)
	s_mul_u64 s[54:55], s[20:21], s[50:51]
	s_add_nc_u64 s[56:57], s[24:25], s[54:55]
	s_delay_alu instid0(SALU_CYCLE_1) | instskip(NEXT) | instid1(SALU_CYCLE_1)
	s_or_b64 s[54:55], s[56:57], s[28:29]
	s_and_b64 s[54:55], s[54:55], 0xffffffff00000000
	s_delay_alu instid0(SALU_CYCLE_1)
	s_cmp_lg_u64 s[54:55], 0
	s_cbranch_scc0 .LBB2_37
; %bb.25:                               ;   in Loop: Header=BB2_21 Depth=2
	s_ashr_i32 s54, s29, 31
	s_delay_alu instid0(SALU_CYCLE_1) | instskip(NEXT) | instid1(SALU_CYCLE_1)
	s_mov_b32 s55, s54
	s_add_nc_u64 s[58:59], s[28:29], s[54:55]
	s_delay_alu instid0(SALU_CYCLE_1) | instskip(NEXT) | instid1(SALU_CYCLE_1)
	s_xor_b64 s[58:59], s[58:59], s[54:55]
	s_cvt_f32_u32 s2, s58
	s_cvt_f32_u32 s64, s59
	s_sub_nc_u64 s[66:67], 0, s[58:59]
	s_delay_alu instid0(SALU_CYCLE_2) | instskip(NEXT) | instid1(SALU_CYCLE_3)
	s_fmamk_f32 s2, s64, 0x4f800000, s2
	v_s_rcp_f32 s2, s2
	s_delay_alu instid0(TRANS32_DEP_1) | instskip(NEXT) | instid1(SALU_CYCLE_3)
	s_mul_f32 s2, s2, 0x5f7ffffc
	s_mul_f32 s64, s2, 0x2f800000
	s_delay_alu instid0(SALU_CYCLE_3) | instskip(NEXT) | instid1(SALU_CYCLE_3)
	s_trunc_f32 s64, s64
	s_fmamk_f32 s2, s64, 0xcf800000, s2
	s_cvt_u32_f32 s65, s64
	s_delay_alu instid0(SALU_CYCLE_2) | instskip(NEXT) | instid1(SALU_CYCLE_3)
	s_cvt_u32_f32 s64, s2
	s_mul_u64 s[68:69], s[66:67], s[64:65]
	s_delay_alu instid0(SALU_CYCLE_1)
	s_mul_hi_u32 s71, s64, s69
	s_mul_i32 s70, s64, s69
	s_mul_hi_u32 s2, s64, s68
	s_mul_i32 s73, s65, s68
	s_add_nc_u64 s[70:71], s[2:3], s[70:71]
	s_mul_hi_u32 s72, s65, s68
	s_mul_hi_u32 s74, s65, s69
	s_add_co_u32 s2, s70, s73
	s_add_co_ci_u32 s2, s71, s72
	s_mul_i32 s68, s65, s69
	s_add_co_ci_u32 s69, s74, 0
	s_delay_alu instid0(SALU_CYCLE_1) | instskip(NEXT) | instid1(SALU_CYCLE_1)
	s_add_nc_u64 s[68:69], s[2:3], s[68:69]
	s_add_co_u32 s64, s64, s68
	s_cselect_b32 s2, -1, 0
	s_delay_alu instid0(SALU_CYCLE_1) | instskip(SKIP_1) | instid1(SALU_CYCLE_1)
	s_cmp_lg_u32 s2, 0
	s_add_co_ci_u32 s65, s65, s69
	s_mul_u64 s[66:67], s[66:67], s[64:65]
	s_delay_alu instid0(SALU_CYCLE_1)
	s_mul_hi_u32 s69, s64, s67
	s_mul_i32 s68, s64, s67
	s_mul_hi_u32 s2, s64, s66
	s_mul_i32 s71, s65, s66
	s_add_nc_u64 s[68:69], s[2:3], s[68:69]
	s_mul_hi_u32 s70, s65, s66
	s_mul_hi_u32 s72, s65, s67
	s_add_co_u32 s2, s68, s71
	s_add_co_ci_u32 s2, s69, s70
	s_mul_i32 s66, s65, s67
	s_add_co_ci_u32 s67, s72, 0
	s_delay_alu instid0(SALU_CYCLE_1) | instskip(NEXT) | instid1(SALU_CYCLE_1)
	s_add_nc_u64 s[66:67], s[2:3], s[66:67]
	s_add_co_u32 s70, s64, s66
	s_cselect_b32 s2, -1, 0
	s_delay_alu instid0(SALU_CYCLE_1) | instskip(SKIP_2) | instid1(SALU_CYCLE_1)
	s_cmp_lg_u32 s2, 0
	s_add_co_ci_u32 s71, s65, s67
	s_ashr_i32 s64, s57, 31
	s_mov_b32 s65, s64
	s_delay_alu instid0(SALU_CYCLE_1) | instskip(NEXT) | instid1(SALU_CYCLE_1)
	s_add_nc_u64 s[66:67], s[56:57], s[64:65]
	s_xor_b64 s[66:67], s[66:67], s[64:65]
	s_delay_alu instid0(SALU_CYCLE_1)
	s_mul_hi_u32 s69, s66, s71
	s_mul_i32 s68, s66, s71
	s_mul_hi_u32 s2, s66, s70
	s_mul_i32 s73, s67, s70
	s_add_nc_u64 s[68:69], s[2:3], s[68:69]
	s_mul_hi_u32 s72, s67, s70
	s_mul_hi_u32 s57, s67, s71
	s_add_co_u32 s2, s68, s73
	s_add_co_ci_u32 s2, s69, s72
	s_mul_i32 s70, s67, s71
	s_add_co_ci_u32 s71, s57, 0
	s_delay_alu instid0(SALU_CYCLE_1) | instskip(NEXT) | instid1(SALU_CYCLE_1)
	s_add_nc_u64 s[68:69], s[2:3], s[70:71]
	s_and_b64 s[70:71], s[68:69], 0xffffffff00000000
	s_delay_alu instid0(SALU_CYCLE_1) | instskip(NEXT) | instid1(SALU_CYCLE_1)
	s_or_b32 s70, s70, s68
	s_mul_u64 s[68:69], s[58:59], s[70:71]
	s_delay_alu instid0(SALU_CYCLE_1)
	s_sub_co_u32 s2, s66, s68
	s_cselect_b32 s57, -1, 0
	s_sub_co_i32 s66, s67, s69
	s_cmp_lg_u32 s57, 0
	s_sub_co_ci_u32 s66, s66, s59
	s_sub_co_u32 s68, s2, s58
	s_cselect_b32 s72, -1, 0
	s_delay_alu instid0(SALU_CYCLE_1) | instskip(SKIP_2) | instid1(SALU_CYCLE_1)
	s_cmp_lg_u32 s72, 0
	s_add_nc_u64 s[72:73], s[70:71], 1
	s_sub_co_ci_u32 s66, s66, 0
	s_cmp_ge_u32 s66, s59
	s_cselect_b32 s74, -1, 0
	s_cmp_ge_u32 s68, s58
	s_cselect_b32 s68, -1, 0
	s_cmp_eq_u32 s66, s59
	s_cselect_b32 s66, s68, s74
	s_add_nc_u64 s[74:75], s[70:71], 2
	s_cmp_lg_u32 s66, 0
	s_cselect_b32 s66, s74, s72
	s_cselect_b32 s68, s75, s73
	s_cmp_lg_u32 s57, 0
	s_sub_co_ci_u32 s57, s67, s69
	s_delay_alu instid0(SALU_CYCLE_1)
	s_cmp_ge_u32 s57, s59
	s_cselect_b32 s67, -1, 0
	s_cmp_ge_u32 s2, s58
	s_cselect_b32 s2, -1, 0
	s_cmp_eq_u32 s57, s59
	s_cselect_b32 s2, s2, s67
	s_delay_alu instid0(SALU_CYCLE_1) | instskip(SKIP_3) | instid1(SALU_CYCLE_1)
	s_cmp_lg_u32 s2, 0
	s_cselect_b32 s59, s68, s71
	s_cselect_b32 s58, s66, s70
	s_xor_b64 s[54:55], s[64:65], s[54:55]
	s_xor_b64 s[58:59], s[58:59], s[54:55]
	s_delay_alu instid0(SALU_CYCLE_1)
	s_sub_nc_u64 s[54:55], s[58:59], s[54:55]
	s_cbranch_execnz .LBB2_27
.LBB2_26:                               ;   in Loop: Header=BB2_21 Depth=2
	v_nop
	v_readfirstlane_b32 s2, v22
	s_sub_co_i32 s54, 0, s28
	s_delay_alu instid0(SALU_CYCLE_1) | instskip(NEXT) | instid1(SALU_CYCLE_1)
	s_mul_i32 s54, s54, s2
	s_mul_hi_u32 s54, s2, s54
	s_delay_alu instid0(SALU_CYCLE_1) | instskip(NEXT) | instid1(SALU_CYCLE_1)
	s_add_co_i32 s2, s2, s54
	s_mul_hi_u32 s2, s56, s2
	s_delay_alu instid0(SALU_CYCLE_1) | instskip(SKIP_2) | instid1(SALU_CYCLE_1)
	s_mul_i32 s54, s2, s28
	s_add_co_i32 s55, s2, 1
	s_sub_co_i32 s54, s56, s54
	s_sub_co_i32 s56, s54, s28
	s_cmp_ge_u32 s54, s28
	s_cselect_b32 s2, s55, s2
	s_cselect_b32 s54, s56, s54
	s_add_co_i32 s55, s2, 1
	s_cmp_ge_u32 s54, s28
	s_cselect_b32 s2, s55, s2
	s_delay_alu instid0(SALU_CYCLE_1)
	s_mov_b64 s[54:55], s[2:3]
.LBB2_27:                               ;   in Loop: Header=BB2_21 Depth=2
	s_or_b64 s[56:57], s[24:25], s[28:29]
	s_delay_alu instid0(SALU_CYCLE_1) | instskip(NEXT) | instid1(SALU_CYCLE_1)
	s_and_b64 s[56:57], s[56:57], 0xffffffff00000000
	s_cmp_lg_u64 s[56:57], 0
	s_cbranch_scc0 .LBB2_38
; %bb.28:                               ;   in Loop: Header=BB2_21 Depth=2
	s_ashr_i32 s56, s29, 31
	s_delay_alu instid0(SALU_CYCLE_1) | instskip(NEXT) | instid1(SALU_CYCLE_1)
	s_mov_b32 s57, s56
	s_add_nc_u64 s[58:59], s[28:29], s[56:57]
	s_delay_alu instid0(SALU_CYCLE_1) | instskip(NEXT) | instid1(SALU_CYCLE_1)
	s_xor_b64 s[56:57], s[58:59], s[56:57]
	s_cvt_f32_u32 s2, s56
	s_cvt_f32_u32 s58, s57
	s_sub_nc_u64 s[64:65], 0, s[56:57]
	s_delay_alu instid0(SALU_CYCLE_2) | instskip(NEXT) | instid1(SALU_CYCLE_3)
	s_fmamk_f32 s2, s58, 0x4f800000, s2
	v_s_rcp_f32 s2, s2
	s_delay_alu instid0(TRANS32_DEP_1) | instskip(NEXT) | instid1(SALU_CYCLE_3)
	s_mul_f32 s2, s2, 0x5f7ffffc
	s_mul_f32 s58, s2, 0x2f800000
	s_delay_alu instid0(SALU_CYCLE_3) | instskip(NEXT) | instid1(SALU_CYCLE_3)
	s_trunc_f32 s58, s58
	s_fmamk_f32 s2, s58, 0xcf800000, s2
	s_cvt_u32_f32 s59, s58
	s_delay_alu instid0(SALU_CYCLE_2) | instskip(NEXT) | instid1(SALU_CYCLE_3)
	s_cvt_u32_f32 s58, s2
	s_mul_u64 s[66:67], s[64:65], s[58:59]
	s_delay_alu instid0(SALU_CYCLE_1)
	s_mul_hi_u32 s69, s58, s67
	s_mul_i32 s68, s58, s67
	s_mul_hi_u32 s2, s58, s66
	s_mul_i32 s71, s59, s66
	s_add_nc_u64 s[68:69], s[2:3], s[68:69]
	s_mul_hi_u32 s70, s59, s66
	s_mul_hi_u32 s72, s59, s67
	s_add_co_u32 s2, s68, s71
	s_add_co_ci_u32 s2, s69, s70
	s_mul_i32 s66, s59, s67
	s_add_co_ci_u32 s67, s72, 0
	s_delay_alu instid0(SALU_CYCLE_1) | instskip(NEXT) | instid1(SALU_CYCLE_1)
	s_add_nc_u64 s[66:67], s[2:3], s[66:67]
	s_add_co_u32 s58, s58, s66
	s_cselect_b32 s2, -1, 0
	s_delay_alu instid0(SALU_CYCLE_1) | instskip(SKIP_1) | instid1(SALU_CYCLE_1)
	s_cmp_lg_u32 s2, 0
	s_add_co_ci_u32 s59, s59, s67
	s_mul_u64 s[64:65], s[64:65], s[58:59]
	s_delay_alu instid0(SALU_CYCLE_1)
	s_mul_hi_u32 s67, s58, s65
	s_mul_i32 s66, s58, s65
	s_mul_hi_u32 s2, s58, s64
	s_mul_i32 s69, s59, s64
	s_add_nc_u64 s[66:67], s[2:3], s[66:67]
	s_mul_hi_u32 s68, s59, s64
	s_mul_hi_u32 s70, s59, s65
	s_add_co_u32 s2, s66, s69
	s_add_co_ci_u32 s2, s67, s68
	s_mul_i32 s64, s59, s65
	s_add_co_ci_u32 s65, s70, 0
	s_delay_alu instid0(SALU_CYCLE_1) | instskip(NEXT) | instid1(SALU_CYCLE_1)
	s_add_nc_u64 s[64:65], s[2:3], s[64:65]
	s_add_co_u32 s68, s58, s64
	s_cselect_b32 s2, -1, 0
	s_delay_alu instid0(SALU_CYCLE_1) | instskip(SKIP_2) | instid1(SALU_CYCLE_1)
	s_cmp_lg_u32 s2, 0
	s_add_co_ci_u32 s69, s59, s65
	s_ashr_i32 s58, s25, 31
	s_mov_b32 s59, s58
	s_delay_alu instid0(SALU_CYCLE_1) | instskip(NEXT) | instid1(SALU_CYCLE_1)
	s_add_nc_u64 s[64:65], s[24:25], s[58:59]
	s_xor_b64 s[64:65], s[64:65], s[58:59]
	s_delay_alu instid0(SALU_CYCLE_1)
	s_mul_hi_u32 s67, s64, s69
	s_mul_i32 s66, s64, s69
	s_mul_hi_u32 s2, s64, s68
	s_mul_i32 s72, s65, s68
	s_add_nc_u64 s[66:67], s[2:3], s[66:67]
	s_mul_hi_u32 s71, s65, s68
	s_mul_hi_u32 s70, s65, s69
	s_add_co_u32 s2, s66, s72
	s_add_co_ci_u32 s2, s67, s71
	s_mul_i32 s68, s65, s69
	s_add_co_ci_u32 s69, s70, 0
	s_delay_alu instid0(SALU_CYCLE_1) | instskip(NEXT) | instid1(SALU_CYCLE_1)
	s_add_nc_u64 s[66:67], s[2:3], s[68:69]
	s_and_b64 s[68:69], s[66:67], 0xffffffff00000000
	s_delay_alu instid0(SALU_CYCLE_1) | instskip(NEXT) | instid1(SALU_CYCLE_1)
	s_or_b32 s68, s68, s66
	s_mul_u64 s[66:67], s[56:57], s[68:69]
	s_delay_alu instid0(SALU_CYCLE_1)
	s_sub_co_u32 s2, s64, s66
	s_cselect_b32 s64, -1, 0
	s_sub_co_i32 s66, s65, s67
	s_cmp_lg_u32 s64, 0
	s_sub_co_ci_u32 s66, s66, s57
	s_sub_co_u32 s68, s2, s56
	s_cselect_b32 s69, -1, 0
	s_delay_alu instid0(SALU_CYCLE_1) | instskip(SKIP_1) | instid1(SALU_CYCLE_1)
	s_cmp_lg_u32 s69, 0
	s_sub_co_ci_u32 s70, s66, 0
	s_cmp_ge_u32 s70, s57
	s_cselect_b32 s71, -1, 0
	s_cmp_ge_u32 s68, s56
	s_cselect_b32 s72, -1, 0
	s_cmp_eq_u32 s70, s57
	s_cselect_b32 s71, s72, s71
	s_cmp_lg_u32 s69, 0
	s_sub_co_ci_u32 s66, s66, s57
	s_sub_co_u32 s69, s68, s56
	s_cselect_b32 s72, -1, 0
	s_delay_alu instid0(SALU_CYCLE_1)
	s_cmp_lg_u32 s72, 0
	s_sub_co_ci_u32 s66, s66, 0
	s_cmp_lg_u32 s71, 0
	s_cselect_b32 s68, s69, s68
	s_cselect_b32 s66, s66, s70
	s_cmp_lg_u32 s64, 0
	s_sub_co_ci_u32 s64, s65, s67
	s_delay_alu instid0(SALU_CYCLE_1)
	s_cmp_ge_u32 s64, s57
	s_cselect_b32 s65, -1, 0
	s_cmp_ge_u32 s2, s56
	s_cselect_b32 s56, -1, 0
	s_cmp_eq_u32 s64, s57
	s_cselect_b32 s56, s56, s65
	s_delay_alu instid0(SALU_CYCLE_1) | instskip(SKIP_2) | instid1(SALU_CYCLE_1)
	s_cmp_lg_u32 s56, 0
	s_cselect_b32 s57, s66, s64
	s_cselect_b32 s56, s68, s2
	s_xor_b64 s[56:57], s[56:57], s[58:59]
	s_delay_alu instid0(SALU_CYCLE_1)
	s_sub_nc_u64 s[56:57], s[56:57], s[58:59]
	s_cbranch_execnz .LBB2_30
.LBB2_29:                               ;   in Loop: Header=BB2_21 Depth=2
	v_nop
	v_readfirstlane_b32 s2, v22
	s_sub_co_i32 s56, 0, s28
	s_delay_alu instid0(SALU_CYCLE_1) | instskip(NEXT) | instid1(SALU_CYCLE_1)
	s_mul_i32 s56, s56, s2
	s_mul_hi_u32 s56, s2, s56
	s_delay_alu instid0(SALU_CYCLE_1) | instskip(NEXT) | instid1(SALU_CYCLE_1)
	s_add_co_i32 s2, s2, s56
	s_mul_hi_u32 s2, s24, s2
	s_delay_alu instid0(SALU_CYCLE_1) | instskip(NEXT) | instid1(SALU_CYCLE_1)
	s_mul_i32 s2, s2, s28
	s_sub_co_i32 s2, s24, s2
	s_delay_alu instid0(SALU_CYCLE_1) | instskip(SKIP_2) | instid1(SALU_CYCLE_1)
	s_sub_co_i32 s56, s2, s28
	s_cmp_ge_u32 s2, s28
	s_cselect_b32 s2, s56, s2
	s_sub_co_i32 s56, s2, s28
	s_cmp_ge_u32 s2, s28
	s_cselect_b32 s2, s56, s2
	s_delay_alu instid0(SALU_CYCLE_1)
	s_mov_b64 s[56:57], s[2:3]
.LBB2_30:                               ;   in Loop: Header=BB2_21 Depth=2
	v_mad_nc_u64_u32 v[14:15], s50, s4, v[12:13]
	s_mul_i32 s2, s51, s4
	s_mul_i32 s58, s50, s5
	v_mad_nc_u64_u32 v[16:17], s56, s62, v[6:7]
	s_mul_i32 s59, s54, s7
	s_mul_i32 s64, s56, s23
	s_delay_alu instid0(VALU_DEP_2) | instskip(SKIP_3) | instid1(VALU_DEP_2)
	v_add3_u32 v15, s58, s2, v15
	s_mul_i32 s58, s55, s6
	s_mul_i32 s2, s57, s62
	s_mul_i32 s57, s57, s8
	v_add3_u32 v17, s64, s2, v17
	v_mad_nc_u64_u32 v[14:15], s54, s6, v[14:15]
	s_delay_alu instid0(VALU_DEP_2) | instskip(SKIP_1) | instid1(VALU_DEP_3)
	v_cmp_gt_i64_e32 vcc_lo, 0, v[16:17]
	v_cmp_le_i64_e64 s2, s[40:41], v[16:17]
	v_add3_u32 v15, s59, s58, v15
	s_or_b32 s2, vcc_lo, s2
	s_delay_alu instid0(VALU_DEP_1)
	v_mad_nc_u64_u32 v[14:15], s56, s8, v[14:15]
	s_mul_i32 s56, s56, s9
	s_delay_alu instid0(VALU_DEP_1) | instid1(SALU_CYCLE_1)
	v_add3_u32 v15, s56, s57, v15
	s_or_b32 s56, s2, s0
	s_delay_alu instid0(SALU_CYCLE_1) | instskip(NEXT) | instid1(SALU_CYCLE_1)
	s_xor_b32 s2, s56, -1
	s_and_saveexec_b32 s57, s2
	s_cbranch_execz .LBB2_34
; %bb.31:                               ;   in Loop: Header=BB2_21 Depth=2
	v_mad_nc_u64_u32 v[18:19], s54, s22, v[8:9]
	s_mul_i32 s2, s55, s22
	s_mul_i32 s54, s54, s63
	s_delay_alu instid0(VALU_DEP_1) | instid1(SALU_CYCLE_1)
	v_add3_u32 v19, s54, s2, v19
	s_mov_b32 s54, -1
	s_delay_alu instid0(VALU_DEP_1) | instskip(SKIP_2) | instid1(SALU_CYCLE_1)
	v_cmp_lt_i64_e32 vcc_lo, -1, v[18:19]
	v_cmp_gt_i64_e64 s2, s[38:39], v[18:19]
	s_and_b32 s2, vcc_lo, s2
	s_and_b32 s55, s1, s2
	s_delay_alu instid0(SALU_CYCLE_1)
	s_and_saveexec_b32 s2, s55
	s_cbranch_execz .LBB2_33
; %bb.32:                               ;   in Loop: Header=BB2_21 Depth=2
	v_mad_nc_u64_u32 v[24:25], s50, s36, v[0:1]
	s_mul_i32 s51, s51, s36
	s_mul_i32 s50, s50, s37
	v_mul_u64_e32 v[18:19], s[16:17], v[18:19]
	v_mul_u64_e32 v[16:17], s[18:19], v[16:17]
	s_xor_b32 s54, exec_lo, -1
	s_delay_alu instid0(VALU_DEP_3) | instskip(NEXT) | instid1(VALU_DEP_1)
	v_add3_u32 v25, s50, s51, v25
	v_mul_u64_e32 v[24:25], s[14:15], v[24:25]
	s_delay_alu instid0(VALU_DEP_1) | instskip(NEXT) | instid1(VALU_DEP_1)
	v_lshl_add_u64 v[24:25], v[24:25], 2, s[44:45]
	v_lshl_add_u64 v[18:19], v[18:19], 2, v[24:25]
	s_delay_alu instid0(VALU_DEP_1) | instskip(NEXT) | instid1(VALU_DEP_1)
	v_lshl_add_u64 v[16:17], v[16:17], 2, v[18:19]
	v_lshl_add_u64 v[16:17], v[10:11], 2, v[16:17]
	global_load_b32 v18, v[16:17], off
	s_wait_xcnt 0x0
	v_lshl_add_u64 v[16:17], v[14:15], 1, s[46:47]
	s_wait_loadcnt 0x0
	v_cvt_f16_f32_e32 v18, v18
	global_store_b16 v[16:17], v18, off
.LBB2_33:                               ;   in Loop: Header=BB2_21 Depth=2
	s_wait_xcnt 0x0
	s_or_b32 exec_lo, exec_lo, s2
	s_delay_alu instid0(SALU_CYCLE_1) | instskip(SKIP_1) | instid1(SALU_CYCLE_1)
	s_and_not1_b32 s2, s56, exec_lo
	s_and_b32 s50, s54, exec_lo
	s_or_b32 s56, s2, s50
.LBB2_34:                               ;   in Loop: Header=BB2_21 Depth=2
	s_or_b32 exec_lo, exec_lo, s57
	s_and_saveexec_b32 s2, s56
	s_cbranch_execz .LBB2_20
; %bb.35:                               ;   in Loop: Header=BB2_21 Depth=2
	s_delay_alu instid0(VALU_DEP_2)
	v_lshl_add_u64 v[14:15], v[14:15], 1, s[46:47]
	global_store_b16 v[14:15], v20, off
	s_branch .LBB2_20
.LBB2_36:                               ;   in Loop: Header=BB2_21 Depth=2
                                        ; implicit-def: $sgpr50_sgpr51
	s_branch .LBB2_23
.LBB2_37:                               ;   in Loop: Header=BB2_21 Depth=2
                                        ; implicit-def: $sgpr54_sgpr55
	s_branch .LBB2_26
.LBB2_38:                               ;   in Loop: Header=BB2_21 Depth=2
                                        ; implicit-def: $sgpr56_sgpr57
	s_branch .LBB2_29
.LBB2_39:
	s_endpgm
.LBB2_40:
                                        ; implicit-def: $vgpr0_vgpr1
	s_branch .LBB2_3
.LBB2_41:
                                        ; implicit-def: $vgpr2_vgpr3
	v_cvt_f32_u32_e32 v16, s50
	s_branch .LBB2_7
	.section	.rodata,"a",@progbits
	.p2align	6, 0x0
	.amdhsa_kernel _ZL16im2col_3d_kernelI6__halfEvPKfPT_llllllllllllllllllllllllllllliiiiiiiii
		.amdhsa_group_segment_fixed_size 0
		.amdhsa_private_segment_fixed_size 0
		.amdhsa_kernarg_size 544
		.amdhsa_user_sgpr_count 2
		.amdhsa_user_sgpr_dispatch_ptr 0
		.amdhsa_user_sgpr_queue_ptr 0
		.amdhsa_user_sgpr_kernarg_segment_ptr 1
		.amdhsa_user_sgpr_dispatch_id 0
		.amdhsa_user_sgpr_kernarg_preload_length 0
		.amdhsa_user_sgpr_kernarg_preload_offset 0
		.amdhsa_user_sgpr_private_segment_size 0
		.amdhsa_wavefront_size32 1
		.amdhsa_uses_dynamic_stack 0
		.amdhsa_enable_private_segment 0
		.amdhsa_system_sgpr_workgroup_id_x 1
		.amdhsa_system_sgpr_workgroup_id_y 1
		.amdhsa_system_sgpr_workgroup_id_z 1
		.amdhsa_system_sgpr_workgroup_info 0
		.amdhsa_system_vgpr_workitem_id 0
		.amdhsa_next_free_vgpr 26
		.amdhsa_next_free_sgpr 76
		.amdhsa_named_barrier_count 0
		.amdhsa_reserve_vcc 1
		.amdhsa_float_round_mode_32 0
		.amdhsa_float_round_mode_16_64 0
		.amdhsa_float_denorm_mode_32 3
		.amdhsa_float_denorm_mode_16_64 3
		.amdhsa_fp16_overflow 0
		.amdhsa_memory_ordered 1
		.amdhsa_forward_progress 1
		.amdhsa_inst_pref_size 48
		.amdhsa_round_robin_scheduling 0
		.amdhsa_exception_fp_ieee_invalid_op 0
		.amdhsa_exception_fp_denorm_src 0
		.amdhsa_exception_fp_ieee_div_zero 0
		.amdhsa_exception_fp_ieee_overflow 0
		.amdhsa_exception_fp_ieee_underflow 0
		.amdhsa_exception_fp_ieee_inexact 0
		.amdhsa_exception_int_div_zero 0
	.end_amdhsa_kernel
	.section	.text._ZL16im2col_3d_kernelI6__halfEvPKfPT_llllllllllllllllllllllllllllliiiiiiiii,"axG",@progbits,_ZL16im2col_3d_kernelI6__halfEvPKfPT_llllllllllllllllllllllllllllliiiiiiiii,comdat
.Lfunc_end2:
	.size	_ZL16im2col_3d_kernelI6__halfEvPKfPT_llllllllllllllllllllllllllllliiiiiiiii, .Lfunc_end2-_ZL16im2col_3d_kernelI6__halfEvPKfPT_llllllllllllllllllllllllllllliiiiiiiii
                                        ; -- End function
	.set _ZL16im2col_3d_kernelI6__halfEvPKfPT_llllllllllllllllllllllllllllliiiiiiiii.num_vgpr, 26
	.set _ZL16im2col_3d_kernelI6__halfEvPKfPT_llllllllllllllllllllllllllllliiiiiiiii.num_agpr, 0
	.set _ZL16im2col_3d_kernelI6__halfEvPKfPT_llllllllllllllllllllllllllllliiiiiiiii.numbered_sgpr, 76
	.set _ZL16im2col_3d_kernelI6__halfEvPKfPT_llllllllllllllllllllllllllllliiiiiiiii.num_named_barrier, 0
	.set _ZL16im2col_3d_kernelI6__halfEvPKfPT_llllllllllllllllllllllllllllliiiiiiiii.private_seg_size, 0
	.set _ZL16im2col_3d_kernelI6__halfEvPKfPT_llllllllllllllllllllllllllllliiiiiiiii.uses_vcc, 1
	.set _ZL16im2col_3d_kernelI6__halfEvPKfPT_llllllllllllllllllllllllllllliiiiiiiii.uses_flat_scratch, 0
	.set _ZL16im2col_3d_kernelI6__halfEvPKfPT_llllllllllllllllllllllllllllliiiiiiiii.has_dyn_sized_stack, 0
	.set _ZL16im2col_3d_kernelI6__halfEvPKfPT_llllllllllllllllllllllllllllliiiiiiiii.has_recursion, 0
	.set _ZL16im2col_3d_kernelI6__halfEvPKfPT_llllllllllllllllllllllllllllliiiiiiiii.has_indirect_call, 0
	.section	.AMDGPU.csdata,"",@progbits
; Kernel info:
; codeLenInByte = 6048
; TotalNumSgprs: 78
; NumVgprs: 26
; ScratchSize: 0
; MemoryBound: 0
; FloatMode: 240
; IeeeMode: 1
; LDSByteSize: 0 bytes/workgroup (compile time only)
; SGPRBlocks: 0
; VGPRBlocks: 1
; NumSGPRsForWavesPerEU: 78
; NumVGPRsForWavesPerEU: 26
; NamedBarCnt: 0
; Occupancy: 16
; WaveLimiterHint : 1
; COMPUTE_PGM_RSRC2:SCRATCH_EN: 0
; COMPUTE_PGM_RSRC2:USER_SGPR: 2
; COMPUTE_PGM_RSRC2:TRAP_HANDLER: 0
; COMPUTE_PGM_RSRC2:TGID_X_EN: 1
; COMPUTE_PGM_RSRC2:TGID_Y_EN: 1
; COMPUTE_PGM_RSRC2:TGID_Z_EN: 1
; COMPUTE_PGM_RSRC2:TIDIG_COMP_CNT: 0
	.section	.text._ZL16im2col_3d_kernelIfEvPKfPT_llllllllllllllllllllllllllllliiiiiiiii,"axG",@progbits,_ZL16im2col_3d_kernelIfEvPKfPT_llllllllllllllllllllllllllllliiiiiiiii,comdat
	.globl	_ZL16im2col_3d_kernelIfEvPKfPT_llllllllllllllllllllllllllllliiiiiiiii ; -- Begin function _ZL16im2col_3d_kernelIfEvPKfPT_llllllllllllllllllllllllllllliiiiiiiii
	.p2align	8
	.type	_ZL16im2col_3d_kernelIfEvPKfPT_llllllllllllllllllllllllllllliiiiiiiii,@function
_ZL16im2col_3d_kernelIfEvPKfPT_llllllllllllllllllllllllllllliiiiiiiii: ; @_ZL16im2col_3d_kernelIfEvPKfPT_llllllllllllllllllllllllllllliiiiiiiii
; %bb.0:
	s_clause 0x1
	s_load_b32 s2, s[0:1], 0x12c
	s_load_b64 s[34:35], s[0:1], 0xa0
	s_bfe_u32 s3, ttmp6, 0x4000c
	s_and_b32 s4, ttmp6, 15
	s_add_co_i32 s3, s3, 1
	s_getreg_b32 s33, hwreg(HW_REG_IB_STS2, 6, 4)
	s_mul_i32 s3, ttmp9, s3
	v_mov_b32_e32 v7, 0
	s_add_co_i32 s4, s4, s3
	s_wait_kmcnt 0x0
	s_and_b32 s2, s2, 0xffff
	s_cmp_eq_u32 s33, 0
	s_cselect_b32 s3, ttmp9, s4
	s_delay_alu instid0(SALU_CYCLE_1) | instskip(SKIP_1) | instid1(VALU_DEP_1)
	v_mad_u32 v6, s3, s2, v0
	s_mov_b32 s2, exec_lo
	v_cmpx_gt_i64_e64 s[34:35], v[6:7]
	s_cbranch_execz .LBB3_37
; %bb.1:
	s_load_b64 s[4:5], s[0:1], 0x78
	s_wait_kmcnt 0x0
	s_and_b64 s[2:3], s[4:5], 0xffffffff00000000
	s_delay_alu instid0(SALU_CYCLE_1)
	s_cmp_lg_u64 s[2:3], 0
	s_cbranch_scc0 .LBB3_38
; %bb.2:
	s_ashr_i32 s6, s5, 31
	v_add_nc_u64_e32 v[0:1], 0, v[6:7]
	s_mov_b32 s7, s6
	v_mov_b32_e32 v3, 0
	s_add_nc_u64 s[2:3], s[4:5], s[6:7]
	s_delay_alu instid0(SALU_CYCLE_1) | instskip(NEXT) | instid1(VALU_DEP_2)
	s_xor_b64 s[8:9], s[2:3], s[6:7]
	v_mov_b32_e32 v2, v0
	s_cvt_f32_u32 s2, s8
	s_cvt_f32_u32 s3, s9
	s_sub_nc_u64 s[12:13], 0, s[8:9]
	s_delay_alu instid0(SALU_CYCLE_2) | instskip(NEXT) | instid1(SALU_CYCLE_3)
	s_fmamk_f32 s2, s3, 0x4f800000, s2
	v_s_rcp_f32 s2, s2
	s_delay_alu instid0(TRANS32_DEP_1) | instskip(NEXT) | instid1(SALU_CYCLE_3)
	s_mul_f32 s2, s2, 0x5f7ffffc
	s_mul_f32 s3, s2, 0x2f800000
	s_delay_alu instid0(SALU_CYCLE_3) | instskip(NEXT) | instid1(SALU_CYCLE_3)
	s_trunc_f32 s3, s3
	s_fmamk_f32 s2, s3, 0xcf800000, s2
	s_cvt_u32_f32 s11, s3
	s_mov_b32 s3, 0
	s_delay_alu instid0(SALU_CYCLE_1) | instskip(NEXT) | instid1(SALU_CYCLE_3)
	s_cvt_u32_f32 s10, s2
	s_mul_u64 s[14:15], s[12:13], s[10:11]
	s_delay_alu instid0(SALU_CYCLE_1)
	s_mul_hi_u32 s17, s10, s15
	s_mul_i32 s16, s10, s15
	s_mul_hi_u32 s2, s10, s14
	s_mul_i32 s18, s11, s14
	s_add_nc_u64 s[16:17], s[2:3], s[16:17]
	s_mul_hi_u32 s7, s11, s14
	s_mul_hi_u32 s19, s11, s15
	s_add_co_u32 s2, s16, s18
	s_add_co_ci_u32 s2, s17, s7
	s_mul_i32 s14, s11, s15
	s_add_co_ci_u32 s15, s19, 0
	s_delay_alu instid0(SALU_CYCLE_1) | instskip(NEXT) | instid1(SALU_CYCLE_1)
	s_add_nc_u64 s[14:15], s[2:3], s[14:15]
	s_add_co_u32 s10, s10, s14
	s_cselect_b32 s2, -1, 0
	s_delay_alu instid0(SALU_CYCLE_1) | instskip(SKIP_1) | instid1(SALU_CYCLE_1)
	s_cmp_lg_u32 s2, 0
	s_add_co_ci_u32 s11, s11, s15
	s_mul_u64 s[12:13], s[12:13], s[10:11]
	s_delay_alu instid0(SALU_CYCLE_1)
	s_mul_hi_u32 s15, s10, s13
	s_mul_i32 s14, s10, s13
	s_mul_hi_u32 s2, s10, s12
	s_mul_i32 s16, s11, s12
	s_add_nc_u64 s[14:15], s[2:3], s[14:15]
	s_mul_hi_u32 s7, s11, s12
	s_mul_hi_u32 s17, s11, s13
	s_add_co_u32 s2, s14, s16
	s_add_co_ci_u32 s2, s15, s7
	s_mul_i32 s12, s11, s13
	s_add_co_ci_u32 s13, s17, 0
	s_delay_alu instid0(SALU_CYCLE_1) | instskip(NEXT) | instid1(SALU_CYCLE_1)
	s_add_nc_u64 s[12:13], s[2:3], s[12:13]
	s_add_co_u32 s10, s10, s12
	s_cselect_b32 s2, -1, 0
	s_delay_alu instid0(SALU_CYCLE_1)
	s_cmp_lg_u32 s2, 0
	s_add_co_ci_u32 s2, s11, s13
	s_mov_b64 s[12:13], 0xffffffff
	v_nop
	v_mul_u64_e32 v[4:5], s[2:3], v[2:3]
	v_mul_hi_u32 v2, v0, s10
	s_and_b64 s[10:11], s[10:11], s[12:13]
	s_delay_alu instid0(VALU_DEP_1) | instskip(SKIP_1) | instid1(VALU_DEP_1)
	v_add_nc_u64_e32 v[4:5], v[2:3], v[4:5]
	v_mov_b32_e32 v2, v1
	v_mul_u64_e32 v[8:9], s[10:11], v[2:3]
	v_mul_u64_e32 v[10:11], s[2:3], v[2:3]
	s_delay_alu instid0(VALU_DEP_2) | instskip(NEXT) | instid1(VALU_DEP_3)
	v_add_co_u32 v2, vcc_lo, v4, v8
	v_add_co_ci_u32_e32 v2, vcc_lo, v5, v9, vcc_lo
	s_delay_alu instid0(VALU_DEP_3) | instskip(NEXT) | instid1(VALU_DEP_1)
	v_add_co_ci_u32_e32 v11, vcc_lo, 0, v11, vcc_lo
	v_add_nc_u64_e32 v[2:3], v[2:3], v[10:11]
	s_delay_alu instid0(VALU_DEP_1) | instskip(NEXT) | instid1(VALU_DEP_1)
	v_mul_u64_e32 v[4:5], s[8:9], v[2:3]
	v_sub_nc_u32_e32 v8, v1, v5
	s_delay_alu instid0(VALU_DEP_2) | instskip(NEXT) | instid1(VALU_DEP_1)
	v_sub_co_u32 v0, vcc_lo, v0, v4
	v_sub_co_ci_u32_e64 v5, null, v1, v5, vcc_lo
	s_delay_alu instid0(VALU_DEP_3) | instskip(NEXT) | instid1(VALU_DEP_3)
	v_subrev_co_ci_u32_e64 v4, null, s9, v8, vcc_lo
	v_sub_co_u32 v10, s2, v0, s8
	v_cmp_le_u32_e32 vcc_lo, s8, v0
	s_delay_alu instid0(VALU_DEP_3) | instskip(NEXT) | instid1(VALU_DEP_3)
	v_subrev_co_ci_u32_e64 v4, null, 0, v4, s2
	v_cmp_le_u32_e64 s2, s8, v10
	v_add_nc_u64_e32 v[8:9], 2, v[2:3]
	v_cndmask_b32_e64 v12, 0, -1, vcc_lo
	s_delay_alu instid0(VALU_DEP_4) | instskip(SKIP_3) | instid1(VALU_DEP_1)
	v_cmp_eq_u32_e32 vcc_lo, s9, v4
	v_add_nc_u64_e32 v[0:1], 1, v[2:3]
	v_cndmask_b32_e64 v10, 0, -1, s2
	v_cmp_le_u32_e64 s2, s9, v4
	v_cndmask_b32_e64 v11, 0, -1, s2
	v_cmp_eq_u32_e64 s2, s9, v5
	s_delay_alu instid0(VALU_DEP_2) | instskip(SKIP_2) | instid1(VALU_DEP_3)
	v_cndmask_b32_e32 v4, v11, v10, vcc_lo
	v_cmp_le_u32_e32 vcc_lo, s9, v5
	v_cndmask_b32_e64 v10, 0, -1, vcc_lo
	v_cmp_ne_u32_e32 vcc_lo, 0, v4
	s_delay_alu instid0(VALU_DEP_2) | instskip(SKIP_1) | instid1(VALU_DEP_2)
	v_dual_cndmask_b32 v1, v1, v9, vcc_lo :: v_dual_cndmask_b32 v4, v10, v12, s2
	v_cndmask_b32_e32 v0, v0, v8, vcc_lo
	v_cmp_ne_u32_e32 vcc_lo, 0, v4
	s_delay_alu instid0(VALU_DEP_3) | instskip(NEXT) | instid1(VALU_DEP_3)
	v_dual_cndmask_b32 v3, v3, v1, vcc_lo :: v_dual_mov_b32 v1, s6
	v_dual_cndmask_b32 v2, v2, v0, vcc_lo :: v_dual_mov_b32 v0, s6
	s_delay_alu instid0(VALU_DEP_2) | instskip(NEXT) | instid1(VALU_DEP_2)
	v_xor_b32_e32 v3, s6, v3
	v_xor_b32_e32 v2, s6, v2
	s_delay_alu instid0(VALU_DEP_1)
	v_sub_nc_u64_e32 v[0:1], v[2:3], v[0:1]
	s_cbranch_execnz .LBB3_4
.LBB3_3:
	v_cvt_f32_u32_e32 v0, s4
	s_sub_co_i32 s2, 0, s4
	s_delay_alu instid0(VALU_DEP_1) | instskip(SKIP_1) | instid1(TRANS32_DEP_1)
	v_rcp_iflag_f32_e32 v0, v0
	v_nop
	v_mul_f32_e32 v0, 0x4f7ffffe, v0
	s_delay_alu instid0(VALU_DEP_1) | instskip(NEXT) | instid1(VALU_DEP_1)
	v_cvt_u32_f32_e32 v0, v0
	v_mul_lo_u32 v1, s2, v0
	s_delay_alu instid0(VALU_DEP_1) | instskip(NEXT) | instid1(VALU_DEP_1)
	v_mul_hi_u32 v1, v0, v1
	v_add_nc_u32_e32 v0, v0, v1
	s_delay_alu instid0(VALU_DEP_1) | instskip(NEXT) | instid1(VALU_DEP_1)
	v_mul_hi_u32 v0, v6, v0
	v_mul_lo_u32 v1, v0, s4
	s_delay_alu instid0(VALU_DEP_1) | instskip(NEXT) | instid1(VALU_DEP_1)
	v_dual_add_nc_u32 v2, 1, v0 :: v_dual_sub_nc_u32 v1, v6, v1
	v_subrev_nc_u32_e32 v3, s4, v1
	v_cmp_le_u32_e32 vcc_lo, s4, v1
	s_delay_alu instid0(VALU_DEP_2) | instskip(NEXT) | instid1(VALU_DEP_1)
	v_dual_cndmask_b32 v1, v1, v3 :: v_dual_cndmask_b32 v0, v0, v2
	v_cmp_le_u32_e32 vcc_lo, s4, v1
	s_delay_alu instid0(VALU_DEP_2) | instskip(NEXT) | instid1(VALU_DEP_1)
	v_dual_mov_b32 v1, 0 :: v_dual_add_nc_u32 v2, 1, v0
	v_cndmask_b32_e32 v0, v0, v2, vcc_lo
.LBB3_4:
	s_load_b128 s[28:31], s[0:1], 0x60
	s_bfe_u32 s2, ttmp6, 0x40010
	s_and_b32 s3, ttmp7, 0xffff
	s_add_co_i32 s2, s2, 1
	s_bfe_u32 s6, ttmp6, 0x40004
	s_mul_i32 s2, s3, s2
	s_mov_b32 s49, 0
	s_add_co_i32 s6, s6, s2
	s_cmp_eq_u32 s33, 0
	s_cselect_b32 s48, s3, s6
	s_wait_kmcnt 0x0
	v_cmp_le_i64_e64 s2, s[30:31], s[48:49]
	s_and_b32 vcc_lo, exec_lo, s2
	s_cbranch_vccnz .LBB3_37
; %bb.5:
	s_load_b64 s[36:37], s[0:1], 0x50
	s_wait_kmcnt 0x0
	s_and_b64 s[2:3], s[36:37], 0xffffffff00000000
	s_delay_alu instid0(SALU_CYCLE_1)
	s_cmp_lg_u64 s[2:3], 0
	s_cbranch_scc0 .LBB3_39
; %bb.6:
	s_ashr_i32 s2, s37, 31
	v_add_nc_u64_e32 v[2:3], 0, v[6:7]
	s_mov_b32 s3, s2
	v_mov_b32_e32 v5, 0
	s_add_nc_u64 s[6:7], s[36:37], s[2:3]
	s_delay_alu instid0(SALU_CYCLE_1) | instskip(NEXT) | instid1(VALU_DEP_2)
	s_xor_b64 s[6:7], s[6:7], s[2:3]
	v_mov_b32_e32 v4, v2
	s_cvt_f32_u32 s2, s6
	s_cvt_f32_u32 s3, s7
	s_sub_nc_u64 s[10:11], 0, s[6:7]
	s_delay_alu instid0(SALU_CYCLE_2) | instskip(NEXT) | instid1(SALU_CYCLE_3)
	s_fmamk_f32 s2, s3, 0x4f800000, s2
	v_s_rcp_f32 s2, s2
	s_delay_alu instid0(TRANS32_DEP_1) | instskip(NEXT) | instid1(SALU_CYCLE_3)
	s_mul_f32 s2, s2, 0x5f7ffffc
	s_mul_f32 s3, s2, 0x2f800000
	s_delay_alu instid0(SALU_CYCLE_3) | instskip(NEXT) | instid1(SALU_CYCLE_3)
	s_trunc_f32 s3, s3
	s_fmamk_f32 s2, s3, 0xcf800000, s2
	s_cvt_u32_f32 s9, s3
	s_mov_b32 s3, 0
	s_delay_alu instid0(SALU_CYCLE_1) | instskip(NEXT) | instid1(SALU_CYCLE_3)
	s_cvt_u32_f32 s8, s2
	s_mul_u64 s[12:13], s[10:11], s[8:9]
	s_delay_alu instid0(SALU_CYCLE_1)
	s_mul_hi_u32 s15, s8, s13
	s_mul_i32 s14, s8, s13
	s_mul_hi_u32 s2, s8, s12
	s_mul_i32 s17, s9, s12
	s_add_nc_u64 s[14:15], s[2:3], s[14:15]
	s_mul_hi_u32 s16, s9, s12
	s_mul_hi_u32 s18, s9, s13
	s_add_co_u32 s2, s14, s17
	s_add_co_ci_u32 s2, s15, s16
	s_mul_i32 s12, s9, s13
	s_add_co_ci_u32 s13, s18, 0
	s_delay_alu instid0(SALU_CYCLE_1) | instskip(NEXT) | instid1(SALU_CYCLE_1)
	s_add_nc_u64 s[12:13], s[2:3], s[12:13]
	s_add_co_u32 s8, s8, s12
	s_cselect_b32 s2, -1, 0
	s_delay_alu instid0(SALU_CYCLE_1) | instskip(SKIP_1) | instid1(SALU_CYCLE_1)
	s_cmp_lg_u32 s2, 0
	s_add_co_ci_u32 s9, s9, s13
	s_mul_u64 s[10:11], s[10:11], s[8:9]
	s_delay_alu instid0(SALU_CYCLE_1)
	s_mul_hi_u32 s13, s8, s11
	s_mul_i32 s12, s8, s11
	s_mul_hi_u32 s2, s8, s10
	s_mul_i32 s15, s9, s10
	s_add_nc_u64 s[12:13], s[2:3], s[12:13]
	s_mul_hi_u32 s14, s9, s10
	s_mul_hi_u32 s16, s9, s11
	s_add_co_u32 s2, s12, s15
	s_add_co_ci_u32 s2, s13, s14
	s_mul_i32 s10, s9, s11
	s_add_co_ci_u32 s11, s16, 0
	s_delay_alu instid0(SALU_CYCLE_1) | instskip(NEXT) | instid1(SALU_CYCLE_1)
	s_add_nc_u64 s[10:11], s[2:3], s[10:11]
	s_add_co_u32 s8, s8, s10
	s_cselect_b32 s2, -1, 0
	s_delay_alu instid0(SALU_CYCLE_1)
	s_cmp_lg_u32 s2, 0
	s_add_co_ci_u32 s2, s9, s11
	s_mov_b64 s[10:11], 0xffffffff
	v_nop
	v_mul_u64_e32 v[8:9], s[2:3], v[4:5]
	v_mul_hi_u32 v4, v2, s8
	s_and_b64 s[8:9], s[8:9], s[10:11]
	s_delay_alu instid0(VALU_DEP_1) | instskip(SKIP_1) | instid1(VALU_DEP_1)
	v_add_nc_u64_e32 v[8:9], v[4:5], v[8:9]
	v_mov_b32_e32 v4, v3
	v_mul_u64_e32 v[10:11], s[8:9], v[4:5]
	v_mul_u64_e32 v[12:13], s[2:3], v[4:5]
	s_delay_alu instid0(VALU_DEP_2) | instskip(NEXT) | instid1(VALU_DEP_3)
	v_add_co_u32 v4, vcc_lo, v8, v10
	v_add_co_ci_u32_e32 v4, vcc_lo, v9, v11, vcc_lo
	s_delay_alu instid0(VALU_DEP_3) | instskip(NEXT) | instid1(VALU_DEP_1)
	v_add_co_ci_u32_e32 v13, vcc_lo, 0, v13, vcc_lo
	v_add_nc_u64_e32 v[4:5], v[4:5], v[12:13]
	s_delay_alu instid0(VALU_DEP_1) | instskip(NEXT) | instid1(VALU_DEP_1)
	v_mul_u64_e32 v[4:5], s[6:7], v[4:5]
	v_sub_nc_u32_e32 v8, v3, v5
	s_delay_alu instid0(VALU_DEP_2) | instskip(NEXT) | instid1(VALU_DEP_1)
	v_sub_co_u32 v2, vcc_lo, v2, v4
	v_sub_co_ci_u32_e64 v3, null, v3, v5, vcc_lo
	s_delay_alu instid0(VALU_DEP_3) | instskip(NEXT) | instid1(VALU_DEP_3)
	v_subrev_co_ci_u32_e64 v4, null, s7, v8, vcc_lo
	v_sub_co_u32 v5, vcc_lo, v2, s6
	v_cmp_le_u32_e64 s2, s6, v2
	s_delay_alu instid0(VALU_DEP_3) | instskip(SKIP_1) | instid1(VALU_DEP_3)
	v_subrev_co_ci_u32_e64 v8, null, 0, v4, vcc_lo
	v_subrev_co_ci_u32_e64 v4, null, s7, v4, vcc_lo
	v_cndmask_b32_e64 v9, 0, -1, s2
	v_cmp_le_u32_e64 s2, s6, v5
	v_cmp_le_u32_e32 vcc_lo, s7, v3
	s_delay_alu instid0(VALU_DEP_2) | instskip(SKIP_3) | instid1(VALU_DEP_3)
	v_cndmask_b32_e64 v10, 0, -1, s2
	v_cmp_le_u32_e64 s2, s7, v8
	v_cndmask_b32_e64 v12, 0, -1, vcc_lo
	v_cmp_eq_u32_e32 vcc_lo, s7, v8
	v_cndmask_b32_e64 v11, 0, -1, s2
	v_cmp_eq_u32_e64 s2, s7, v3
	s_delay_alu instid0(VALU_DEP_1) | instskip(SKIP_1) | instid1(VALU_DEP_1)
	v_dual_cndmask_b32 v10, v11, v10, vcc_lo :: v_dual_cndmask_b32 v9, v12, v9, s2
	v_sub_co_u32 v11, vcc_lo, v5, s6
	v_subrev_co_ci_u32_e64 v4, null, 0, v4, vcc_lo
	s_delay_alu instid0(VALU_DEP_3) | instskip(NEXT) | instid1(VALU_DEP_2)
	v_cmp_ne_u32_e32 vcc_lo, 0, v10
	v_dual_cndmask_b32 v4, v8, v4 :: v_dual_cndmask_b32 v5, v5, v11
	v_cmp_ne_u32_e32 vcc_lo, 0, v9
	s_delay_alu instid0(VALU_DEP_2) | instskip(NEXT) | instid1(VALU_DEP_1)
	v_dual_cndmask_b32 v3, v3, v4 :: v_dual_cndmask_b32 v2, v2, v5
	v_sub_nc_u64_e64 v[2:3], v[2:3], 0
	v_cvt_f32_u32_e32 v16, s36
	s_cbranch_execnz .LBB3_8
.LBB3_7:
	s_delay_alu instid0(VALU_DEP_1) | instskip(SKIP_2) | instid1(TRANS32_DEP_1)
	v_rcp_iflag_f32_e32 v2, v16
	s_sub_co_i32 s2, 0, s36
	v_nop
	v_mul_f32_e32 v2, 0x4f7ffffe, v2
	s_delay_alu instid0(VALU_DEP_1) | instskip(NEXT) | instid1(VALU_DEP_1)
	v_cvt_u32_f32_e32 v2, v2
	v_mul_lo_u32 v3, s2, v2
	s_delay_alu instid0(VALU_DEP_1) | instskip(NEXT) | instid1(VALU_DEP_1)
	v_mul_hi_u32 v3, v2, v3
	v_add_nc_u32_e32 v2, v2, v3
	s_delay_alu instid0(VALU_DEP_1) | instskip(NEXT) | instid1(VALU_DEP_1)
	v_mul_hi_u32 v2, v6, v2
	v_mul_lo_u32 v2, v2, s36
	s_delay_alu instid0(VALU_DEP_1) | instskip(NEXT) | instid1(VALU_DEP_1)
	v_sub_nc_u32_e32 v2, v6, v2
	v_subrev_nc_u32_e32 v3, s36, v2
	v_cmp_le_u32_e32 vcc_lo, s36, v2
	s_delay_alu instid0(VALU_DEP_2) | instskip(NEXT) | instid1(VALU_DEP_1)
	v_cndmask_b32_e32 v2, v2, v3, vcc_lo
	v_subrev_nc_u32_e32 v3, s36, v2
	v_cmp_le_u32_e32 vcc_lo, s36, v2
	s_delay_alu instid0(VALU_DEP_2)
	v_dual_cndmask_b32 v2, v2, v3 :: v_dual_mov_b32 v3, 0
.LBB3_8:
	v_mul_u64_e32 v[4:5], s[4:5], v[0:1]
	s_load_b64 s[4:5], s[0:1], 0x88
	s_mov_b32 s2, exec_lo
	v_mov_b32_e32 v8, 0
	s_delay_alu instid0(VALU_DEP_2) | instskip(SKIP_1) | instid1(VALU_DEP_1)
	v_sub_nc_u64_e32 v[10:11], v[6:7], v[4:5]
                                        ; implicit-def: $vgpr6_vgpr7
	s_wait_kmcnt 0x0
	v_or_b32_e32 v9, s5, v11
	s_delay_alu instid0(VALU_DEP_1)
	v_cmpx_ne_u64_e32 0, v[8:9]
	s_xor_b32 s3, exec_lo, s2
	s_cbranch_execz .LBB3_10
; %bb.9:
	s_ashr_i32 s6, s5, 31
	s_mov_b32 s17, 0
	s_mov_b32 s7, s6
	v_dual_mov_b32 v15, v8 :: v_dual_ashrrev_i32 v6, 31, v11
	s_add_nc_u64 s[8:9], s[4:5], s[6:7]
	v_dual_mov_b32 v25, v8 :: v_dual_mov_b32 v9, v8
	s_xor_b64 s[8:9], s[8:9], s[6:7]
	s_delay_alu instid0(VALU_DEP_2) | instskip(SKIP_3) | instid1(VALU_DEP_1)
	v_mov_b32_e32 v7, v6
	s_cvt_f32_u32 s2, s8
	s_cvt_f32_u32 s7, s9
	s_sub_nc_u64 s[12:13], 0, s[8:9]
	v_add_nc_u64_e32 v[12:13], v[10:11], v[6:7]
	s_delay_alu instid0(SALU_CYCLE_1) | instskip(SKIP_1) | instid1(SALU_CYCLE_2)
	s_fmamk_f32 s2, s7, 0x4f800000, s2
	v_mov_b32_e32 v19, v8
	v_s_rcp_f32 s2, s2
	s_delay_alu instid0(VALU_DEP_2) | instskip(NEXT) | instid1(VALU_DEP_3)
	v_xor_b32_e32 v14, v12, v6
	v_xor_b32_e32 v18, v13, v6
	;; [unrolled: 1-line block ×3, first 2 shown]
	s_delay_alu instid0(TRANS32_DEP_1) | instskip(NEXT) | instid1(SALU_CYCLE_3)
	s_mul_f32 s2, s2, 0x5f7ffffc
	s_mul_f32 s7, s2, 0x2f800000
	s_delay_alu instid0(SALU_CYCLE_3) | instskip(NEXT) | instid1(SALU_CYCLE_3)
	s_trunc_f32 s7, s7
	s_fmamk_f32 s2, s7, 0xcf800000, s2
	s_cvt_u32_f32 s11, s7
	s_delay_alu instid0(SALU_CYCLE_2) | instskip(NEXT) | instid1(SALU_CYCLE_3)
	s_cvt_u32_f32 s10, s2
	s_mul_u64 s[14:15], s[12:13], s[10:11]
	s_delay_alu instid0(SALU_CYCLE_1)
	s_mul_hi_u32 s19, s10, s15
	s_mul_i32 s18, s10, s15
	s_mul_hi_u32 s16, s10, s14
	s_mul_i32 s7, s11, s14
	s_add_nc_u64 s[18:19], s[16:17], s[18:19]
	s_mul_hi_u32 s2, s11, s14
	s_mul_hi_u32 s20, s11, s15
	s_add_co_u32 s7, s18, s7
	s_add_co_ci_u32 s16, s19, s2
	s_mul_i32 s14, s11, s15
	s_add_co_ci_u32 s15, s20, 0
	s_delay_alu instid0(SALU_CYCLE_1) | instskip(NEXT) | instid1(SALU_CYCLE_1)
	s_add_nc_u64 s[14:15], s[16:17], s[14:15]
	s_add_co_u32 s10, s10, s14
	s_cselect_b32 s2, -1, 0
	s_delay_alu instid0(SALU_CYCLE_1) | instskip(SKIP_1) | instid1(SALU_CYCLE_1)
	s_cmp_lg_u32 s2, 0
	s_add_co_ci_u32 s11, s11, s15
	s_mul_u64 s[12:13], s[12:13], s[10:11]
	s_delay_alu instid0(SALU_CYCLE_1)
	s_mul_hi_u32 s15, s10, s13
	s_mul_i32 s14, s10, s13
	s_mul_hi_u32 s16, s10, s12
	s_mul_i32 s7, s11, s12
	s_add_nc_u64 s[14:15], s[16:17], s[14:15]
	s_mul_hi_u32 s2, s11, s12
	s_mul_hi_u32 s18, s11, s13
	s_add_co_u32 s7, s14, s7
	s_add_co_ci_u32 s16, s15, s2
	s_mul_i32 s12, s11, s13
	s_add_co_ci_u32 s13, s18, 0
	s_delay_alu instid0(SALU_CYCLE_1) | instskip(NEXT) | instid1(SALU_CYCLE_1)
	s_add_nc_u64 s[12:13], s[16:17], s[12:13]
	s_add_co_u32 s2, s10, s12
	s_cselect_b32 s7, -1, 0
	v_mul_hi_u32 v24, v14, s2
	s_cmp_lg_u32 s7, 0
	s_add_co_ci_u32 s16, s11, s13
	s_mov_b64 s[10:11], 0xffffffff
	v_mul_u64_e32 v[20:21], s[16:17], v[14:15]
	s_and_b64 s[10:11], s[2:3], s[10:11]
	v_mul_u64_e32 v[22:23], s[16:17], v[18:19]
	v_mul_u64_e32 v[12:13], s[10:11], v[18:19]
	s_delay_alu instid0(VALU_DEP_3) | instskip(NEXT) | instid1(VALU_DEP_1)
	v_add_nc_u64_e32 v[20:21], v[24:25], v[20:21]
	v_add_co_u32 v7, vcc_lo, v20, v12
	s_delay_alu instid0(VALU_DEP_2) | instskip(SKIP_1) | instid1(VALU_DEP_1)
	v_add_co_ci_u32_e32 v8, vcc_lo, v21, v13, vcc_lo
	v_add_co_ci_u32_e32 v23, vcc_lo, 0, v23, vcc_lo
	v_add_nc_u64_e32 v[8:9], v[8:9], v[22:23]
	s_delay_alu instid0(VALU_DEP_1) | instskip(NEXT) | instid1(VALU_DEP_1)
	v_mul_u64_e32 v[12:13], s[8:9], v[8:9]
	v_sub_nc_u32_e32 v7, v18, v13
	s_delay_alu instid0(VALU_DEP_2) | instskip(NEXT) | instid1(VALU_DEP_1)
	v_sub_co_u32 v12, vcc_lo, v14, v12
	v_sub_co_ci_u32_e64 v17, null, v18, v13, vcc_lo
	s_delay_alu instid0(VALU_DEP_3) | instskip(NEXT) | instid1(VALU_DEP_3)
	v_subrev_co_ci_u32_e64 v7, null, s9, v7, vcc_lo
	v_sub_co_u32 v14, s2, v12, s8
	s_delay_alu instid0(VALU_DEP_1) | instskip(NEXT) | instid1(VALU_DEP_2)
	v_subrev_co_ci_u32_e64 v7, null, 0, v7, s2
	v_cmp_le_u32_e32 vcc_lo, s8, v14
	v_cndmask_b32_e64 v13, 0, -1, vcc_lo
	s_delay_alu instid0(VALU_DEP_3)
	v_cmp_le_u32_e32 vcc_lo, s9, v7
	v_cndmask_b32_e64 v14, 0, -1, vcc_lo
	v_cmp_le_u32_e32 vcc_lo, s8, v12
	v_cndmask_b32_e64 v18, 0, -1, vcc_lo
	;; [unrolled: 2-line block ×3, first 2 shown]
	v_cmp_eq_u32_e32 vcc_lo, s9, v7
	v_cndmask_b32_e32 v7, v14, v13, vcc_lo
	v_cmp_eq_u32_e32 vcc_lo, s9, v17
	v_add_nc_u64_e32 v[12:13], 2, v[8:9]
	v_add_nc_u64_e32 v[14:15], 1, v[8:9]
	v_cndmask_b32_e32 v17, v19, v18, vcc_lo
	v_cmp_ne_u32_e32 vcc_lo, 0, v7
	s_delay_alu instid0(VALU_DEP_2) | instskip(NEXT) | instid1(VALU_DEP_4)
	v_cmp_ne_u32_e64 s2, 0, v17
	v_dual_cndmask_b32 v7, v15, v13 :: v_dual_cndmask_b32 v12, v14, v12
	s_delay_alu instid0(VALU_DEP_1) | instskip(NEXT) | instid1(VALU_DEP_1)
	v_dual_cndmask_b32 v9, v9, v7, s2 :: v_dual_cndmask_b32 v8, v8, v12, s2
	v_dual_mov_b32 v7, v6 :: v_dual_bitop2_b32 v9, v9, v6 bitop3:0x14
	s_delay_alu instid0(VALU_DEP_2) | instskip(NEXT) | instid1(VALU_DEP_1)
	v_xor_b32_e32 v8, v8, v6
	v_sub_nc_u64_e32 v[6:7], v[8:9], v[6:7]
.LBB3_10:
	s_and_not1_saveexec_b32 s2, s3
	s_cbranch_execz .LBB3_12
; %bb.11:
	v_cvt_f32_u32_e32 v6, s4
	s_sub_co_i32 s3, 0, s4
	s_delay_alu instid0(VALU_DEP_1) | instskip(SKIP_1) | instid1(TRANS32_DEP_1)
	v_rcp_iflag_f32_e32 v6, v6
	v_nop
	v_mul_f32_e32 v6, 0x4f7ffffe, v6
	s_delay_alu instid0(VALU_DEP_1) | instskip(NEXT) | instid1(VALU_DEP_1)
	v_cvt_u32_f32_e32 v6, v6
	v_mul_lo_u32 v7, s3, v6
	s_delay_alu instid0(VALU_DEP_1) | instskip(NEXT) | instid1(VALU_DEP_1)
	v_mul_hi_u32 v7, v6, v7
	v_add_nc_u32_e32 v6, v6, v7
	s_delay_alu instid0(VALU_DEP_1) | instskip(NEXT) | instid1(VALU_DEP_1)
	v_mul_hi_u32 v6, v10, v6
	v_mul_lo_u32 v7, v6, s4
	s_delay_alu instid0(VALU_DEP_1) | instskip(NEXT) | instid1(VALU_DEP_1)
	v_dual_add_nc_u32 v8, 1, v6 :: v_dual_sub_nc_u32 v7, v10, v7
	v_subrev_nc_u32_e32 v9, s4, v7
	v_cmp_le_u32_e32 vcc_lo, s4, v7
	s_delay_alu instid0(VALU_DEP_2) | instskip(NEXT) | instid1(VALU_DEP_1)
	v_dual_cndmask_b32 v7, v7, v9 :: v_dual_cndmask_b32 v6, v6, v8
	v_cmp_le_u32_e32 vcc_lo, s4, v7
	s_delay_alu instid0(VALU_DEP_2) | instskip(NEXT) | instid1(VALU_DEP_1)
	v_dual_mov_b32 v7, 0 :: v_dual_add_nc_u32 v8, 1, v6
	v_cndmask_b32_e32 v6, v6, v8, vcc_lo
.LBB3_12:
	s_or_b32 exec_lo, exec_lo, s2
	s_delay_alu instid0(VALU_DEP_1) | instskip(SKIP_1) | instid1(VALU_DEP_1)
	v_mul_u64_e32 v[8:9], s[4:5], v[6:7]
                                        ; implicit-def: $vgpr12_vgpr13
	s_mov_b32 s2, exec_lo
	v_sub_nc_u64_e32 v[14:15], v[10:11], v[8:9]
	s_delay_alu instid0(VALU_DEP_1) | instskip(NEXT) | instid1(VALU_DEP_1)
	v_dual_mov_b32 v10, 0 :: v_dual_bitop2_b32 v11, s37, v15 bitop3:0x54
	v_cmpx_ne_u64_e32 0, v[10:11]
	s_xor_b32 s3, exec_lo, s2
	s_cbranch_execz .LBB3_14
; %bb.13:
	s_ashr_i32 s4, s37, 31
	s_mov_b32 s15, 0
	s_mov_b32 s5, s4
	v_dual_mov_b32 v17, v10 :: v_dual_ashrrev_i32 v12, 31, v15
	s_add_nc_u64 s[6:7], s[36:37], s[4:5]
	v_dual_mov_b32 v25, v10 :: v_dual_mov_b32 v11, v10
	s_xor_b64 s[6:7], s[6:7], s[4:5]
	s_delay_alu instid0(VALU_DEP_2) | instskip(SKIP_3) | instid1(VALU_DEP_1)
	v_mov_b32_e32 v13, v12
	s_cvt_f32_u32 s2, s6
	s_cvt_f32_u32 s5, s7
	s_sub_nc_u64 s[10:11], 0, s[6:7]
	v_add_nc_u64_e32 v[14:15], v[14:15], v[12:13]
	s_delay_alu instid0(SALU_CYCLE_1) | instskip(SKIP_1) | instid1(SALU_CYCLE_2)
	s_fmamk_f32 s2, s5, 0x4f800000, s2
	v_mov_b32_e32 v19, v10
	v_s_rcp_f32 s2, s2
	s_delay_alu instid0(VALU_DEP_2) | instskip(NEXT) | instid1(VALU_DEP_3)
	v_xor_b32_e32 v16, v14, v12
	v_xor_b32_e32 v18, v15, v12
	;; [unrolled: 1-line block ×3, first 2 shown]
	s_delay_alu instid0(TRANS32_DEP_1) | instskip(NEXT) | instid1(SALU_CYCLE_3)
	s_mul_f32 s2, s2, 0x5f7ffffc
	s_mul_f32 s5, s2, 0x2f800000
	s_delay_alu instid0(SALU_CYCLE_3) | instskip(NEXT) | instid1(SALU_CYCLE_3)
	s_trunc_f32 s5, s5
	s_fmamk_f32 s2, s5, 0xcf800000, s2
	s_cvt_u32_f32 s9, s5
	s_delay_alu instid0(SALU_CYCLE_2) | instskip(NEXT) | instid1(SALU_CYCLE_3)
	s_cvt_u32_f32 s8, s2
	s_mul_u64 s[12:13], s[10:11], s[8:9]
	s_delay_alu instid0(SALU_CYCLE_1)
	s_mul_hi_u32 s17, s8, s13
	s_mul_i32 s16, s8, s13
	s_mul_hi_u32 s14, s8, s12
	s_mul_i32 s5, s9, s12
	s_add_nc_u64 s[16:17], s[14:15], s[16:17]
	s_mul_hi_u32 s2, s9, s12
	s_mul_hi_u32 s18, s9, s13
	s_add_co_u32 s5, s16, s5
	s_add_co_ci_u32 s14, s17, s2
	s_mul_i32 s12, s9, s13
	s_add_co_ci_u32 s13, s18, 0
	s_delay_alu instid0(SALU_CYCLE_1) | instskip(NEXT) | instid1(SALU_CYCLE_1)
	s_add_nc_u64 s[12:13], s[14:15], s[12:13]
	s_add_co_u32 s8, s8, s12
	s_cselect_b32 s2, -1, 0
	s_delay_alu instid0(SALU_CYCLE_1) | instskip(SKIP_1) | instid1(SALU_CYCLE_1)
	s_cmp_lg_u32 s2, 0
	s_add_co_ci_u32 s9, s9, s13
	s_mul_u64 s[10:11], s[10:11], s[8:9]
	s_delay_alu instid0(SALU_CYCLE_1)
	s_mul_hi_u32 s13, s8, s11
	s_mul_i32 s12, s8, s11
	s_mul_hi_u32 s14, s8, s10
	s_mul_i32 s5, s9, s10
	s_add_nc_u64 s[12:13], s[14:15], s[12:13]
	s_mul_hi_u32 s2, s9, s10
	s_mul_hi_u32 s16, s9, s11
	s_add_co_u32 s5, s12, s5
	s_add_co_ci_u32 s14, s13, s2
	s_mul_i32 s10, s9, s11
	s_add_co_ci_u32 s11, s16, 0
	s_delay_alu instid0(SALU_CYCLE_1) | instskip(NEXT) | instid1(SALU_CYCLE_1)
	s_add_nc_u64 s[10:11], s[14:15], s[10:11]
	s_add_co_u32 s2, s8, s10
	s_cselect_b32 s5, -1, 0
	v_mul_hi_u32 v24, v16, s2
	s_cmp_lg_u32 s5, 0
	s_add_co_ci_u32 s14, s9, s11
	s_mov_b64 s[8:9], 0xffffffff
	v_mul_u64_e32 v[20:21], s[14:15], v[16:17]
	s_and_b64 s[8:9], s[2:3], s[8:9]
	v_mul_u64_e32 v[22:23], s[14:15], v[18:19]
	v_mul_u64_e32 v[14:15], s[8:9], v[18:19]
	s_delay_alu instid0(VALU_DEP_3) | instskip(NEXT) | instid1(VALU_DEP_1)
	v_add_nc_u64_e32 v[20:21], v[24:25], v[20:21]
	v_add_co_u32 v10, vcc_lo, v20, v14
	s_delay_alu instid0(VALU_DEP_2) | instskip(SKIP_1) | instid1(VALU_DEP_1)
	v_add_co_ci_u32_e32 v10, vcc_lo, v21, v15, vcc_lo
	v_add_co_ci_u32_e32 v23, vcc_lo, 0, v23, vcc_lo
	v_add_nc_u64_e32 v[10:11], v[10:11], v[22:23]
	s_delay_alu instid0(VALU_DEP_1) | instskip(NEXT) | instid1(VALU_DEP_1)
	v_mul_u64_e32 v[14:15], s[6:7], v[10:11]
	v_sub_nc_u32_e32 v13, v18, v15
	s_delay_alu instid0(VALU_DEP_2) | instskip(NEXT) | instid1(VALU_DEP_1)
	v_sub_co_u32 v14, vcc_lo, v16, v14
	v_sub_co_ci_u32_e64 v18, null, v18, v15, vcc_lo
	s_delay_alu instid0(VALU_DEP_3) | instskip(NEXT) | instid1(VALU_DEP_3)
	v_subrev_co_ci_u32_e64 v13, null, s7, v13, vcc_lo
	v_sub_co_u32 v16, s2, v14, s6
	s_delay_alu instid0(VALU_DEP_1) | instskip(NEXT) | instid1(VALU_DEP_2)
	v_subrev_co_ci_u32_e64 v13, null, 0, v13, s2
	v_cmp_le_u32_e32 vcc_lo, s6, v16
	v_cndmask_b32_e64 v15, 0, -1, vcc_lo
	s_delay_alu instid0(VALU_DEP_3)
	v_cmp_le_u32_e32 vcc_lo, s7, v13
	v_cndmask_b32_e64 v16, 0, -1, vcc_lo
	v_cmp_le_u32_e32 vcc_lo, s6, v14
	v_cndmask_b32_e64 v19, 0, -1, vcc_lo
	;; [unrolled: 2-line block ×3, first 2 shown]
	v_cmp_eq_u32_e32 vcc_lo, s7, v13
	v_cndmask_b32_e32 v13, v16, v15, vcc_lo
	v_cmp_eq_u32_e32 vcc_lo, s7, v18
	v_add_nc_u64_e32 v[14:15], 2, v[10:11]
	v_add_nc_u64_e32 v[16:17], 1, v[10:11]
	v_cndmask_b32_e32 v18, v20, v19, vcc_lo
	v_cmp_ne_u32_e32 vcc_lo, 0, v13
	s_delay_alu instid0(VALU_DEP_2) | instskip(NEXT) | instid1(VALU_DEP_4)
	v_cmp_ne_u32_e64 s2, 0, v18
	v_dual_cndmask_b32 v14, v16, v14 :: v_dual_cndmask_b32 v13, v17, v15
                                        ; implicit-def: $vgpr16
	s_delay_alu instid0(VALU_DEP_1) | instskip(SKIP_1) | instid1(VALU_DEP_2)
	v_dual_cndmask_b32 v10, v10, v14, s2 :: v_dual_cndmask_b32 v11, v11, v13, s2
	v_mov_b32_e32 v13, v12
                                        ; implicit-def: $vgpr14_vgpr15
	v_xor_b32_e32 v10, v10, v12
	s_delay_alu instid0(VALU_DEP_3) | instskip(NEXT) | instid1(VALU_DEP_1)
	v_xor_b32_e32 v11, v11, v12
	v_sub_nc_u64_e32 v[12:13], v[10:11], v[12:13]
.LBB3_14:
	s_and_not1_saveexec_b32 s2, s3
	s_cbranch_execz .LBB3_16
; %bb.15:
	v_rcp_iflag_f32_e32 v10, v16
	s_sub_co_i32 s3, 0, s36
	v_nop
	s_delay_alu instid0(TRANS32_DEP_1) | instskip(NEXT) | instid1(VALU_DEP_1)
	v_mul_f32_e32 v10, 0x4f7ffffe, v10
	v_cvt_u32_f32_e32 v10, v10
	s_delay_alu instid0(VALU_DEP_1) | instskip(NEXT) | instid1(VALU_DEP_1)
	v_mul_lo_u32 v11, s3, v10
	v_mul_hi_u32 v11, v10, v11
	s_delay_alu instid0(VALU_DEP_1) | instskip(NEXT) | instid1(VALU_DEP_1)
	v_add_nc_u32_e32 v10, v10, v11
	v_mul_hi_u32 v10, v14, v10
	s_delay_alu instid0(VALU_DEP_1) | instskip(NEXT) | instid1(VALU_DEP_1)
	v_mul_lo_u32 v11, v10, s36
	v_dual_add_nc_u32 v12, 1, v10 :: v_dual_sub_nc_u32 v11, v14, v11
	s_delay_alu instid0(VALU_DEP_1) | instskip(SKIP_1) | instid1(VALU_DEP_2)
	v_subrev_nc_u32_e32 v13, s36, v11
	v_cmp_le_u32_e32 vcc_lo, s36, v11
	v_dual_cndmask_b32 v11, v11, v13, vcc_lo :: v_dual_mov_b32 v13, 0
	s_delay_alu instid0(VALU_DEP_4) | instskip(NEXT) | instid1(VALU_DEP_2)
	v_cndmask_b32_e32 v10, v10, v12, vcc_lo
	v_cmp_le_u32_e32 vcc_lo, s36, v11
	s_delay_alu instid0(VALU_DEP_2) | instskip(NEXT) | instid1(VALU_DEP_1)
	v_add_nc_u32_e32 v12, 1, v10
	v_cndmask_b32_e32 v12, v10, v12, vcc_lo
.LBB3_16:
	s_or_b32 exec_lo, exec_lo, s2
	s_clause 0x2
	s_load_b256 s[20:27], s[0:1], 0xf8
	s_load_b32 s38, s[0:1], 0x118
	s_load_b128 s[44:47], s[0:1], 0x0
	s_bfe_u32 s2, ttmp6, 0x40014
	s_lshr_b32 s3, ttmp7, 16
	s_add_co_i32 s2, s2, 1
	s_bfe_u32 s39, ttmp6, 0x40008
	s_mul_i32 s2, s3, s2
	v_mul_u64_e32 v[10:11], s[36:37], v[12:13]
	s_add_co_i32 s39, s39, s2
	s_cmp_eq_u32 s33, 0
	s_load_b512 s[4:19], s[0:1], 0xb0
	s_cselect_b32 s2, s3, s39
	s_mov_b32 s3, 0
	s_delay_alu instid0(SALU_CYCLE_1)
	s_mov_b64 s[50:51], s[2:3]
	s_wait_kmcnt 0x0
	s_ashr_i32 s37, s26, 31
	s_mov_b32 s36, s26
	s_ashr_i32 s41, s27, 31
	s_mov_b32 s40, s27
	s_ashr_i32 s39, s38, 31
	v_mul_u64_e32 v[14:15], s[36:37], v[2:3]
	v_mul_u64_e32 v[12:13], s[40:41], v[12:13]
	;; [unrolled: 1-line block ×3, first 2 shown]
	v_cvt_f32_u32_e32 v6, s28
	s_clause 0x1
	s_load_b256 s[36:43], s[0:1], 0x18
	s_load_b64 s[26:27], s[0:1], 0xf0
	s_wait_xcnt 0x0
	s_ashr_i32 s1, s23, 31
	s_mov_b32 s0, s23
	v_rcp_iflag_f32_e32 v6, v6
	s_ashr_i32 s53, s25, 31
	s_mov_b32 s52, s25
	v_cmp_gt_i64_e64 s59, s[10:11], s[2:3]
	s_ashr_i32 s33, s20, 31
	s_mov_b32 s58, s20
	s_ashr_i32 s23, s21, 31
	v_mul_f32_e32 v19, 0x4f7ffffe, v6
	v_lshl_add_u64 v[6:7], v[8:9], 2, s[46:47]
	v_cvt_f32_u32_e32 v8, s12
	s_ashr_i32 s47, s24, 31
	s_mov_b32 s46, s24
	s_mov_b32 s60, s21
	v_lshl_add_u64 v[4:5], v[4:5], 2, v[6:7]
	v_rcp_iflag_f32_e32 v6, v8
	s_ashr_i32 s61, s22, 31
	s_sub_nc_u64 s[20:21], 0, s[12:13]
	s_delay_alu instid0(VALU_DEP_1) | instskip(NEXT) | instid1(TRANS32_DEP_1)
	v_lshl_add_u64 v[4:5], v[10:11], 2, v[4:5]
	v_mul_f32_e32 v10, 0x4f7ffffe, v6
	v_cvt_u32_f32_e32 v19, v19
	s_delay_alu instid0(VALU_DEP_3)
	v_lshl_add_u64 v[2:3], v[2:3], 2, v[4:5]
	v_sub_nc_u64_e64 v[4:5], v[14:15], s[0:1]
	v_sub_nc_u64_e64 v[6:7], v[12:13], s[46:47]
	;; [unrolled: 1-line block ×3, first 2 shown]
	v_cvt_u32_f32_e32 v18, v10
	s_branch .LBB3_18
.LBB3_17:                               ;   in Loop: Header=BB3_18 Depth=1
	s_add_nc_u64 s[48:49], s[48:49], 0xffff
	s_delay_alu instid0(SALU_CYCLE_1)
	v_cmp_ge_i64_e64 s0, s[48:49], s[30:31]
	s_and_b32 vcc_lo, exec_lo, s0
	s_cbranch_vccnz .LBB3_37
.LBB3_18:                               ; =>This Loop Header: Depth=1
                                        ;     Child Loop BB3_22 Depth 2
	s_and_not1_b32 vcc_lo, exec_lo, s59
	s_cbranch_vccnz .LBB3_17
; %bb.19:                               ;   in Loop: Header=BB3_18 Depth=1
	v_mad_nc_u64_u32 v[12:13], s48, s58, v[4:5]
	s_mul_i32 s0, s49, s58
	s_mul_i32 s1, s48, s33
	s_mul_u64 s[24:25], s[48:49], s[34:35]
	s_delay_alu instid0(VALU_DEP_1) | instskip(SKIP_1) | instid1(VALU_DEP_1)
	v_add3_u32 v13, s1, s0, v13
	s_wait_kmcnt 0x0
	v_mul_u64_e32 v[10:11], s[26:27], v[12:13]
	v_cmp_gt_i64_e64 s0, 0, v[12:13]
	v_cmp_gt_i64_e64 s1, s[42:43], v[12:13]
	v_lshl_add_u64 v[12:13], s[24:25], 2, v[2:3]
	s_mov_b64 s[24:25], s[50:51]
	s_branch .LBB3_22
.LBB3_20:                               ;   in Loop: Header=BB3_22 Depth=2
	s_wait_xcnt 0x0
	s_or_b32 exec_lo, exec_lo, s2
.LBB3_21:                               ;   in Loop: Header=BB3_22 Depth=2
	s_delay_alu instid0(SALU_CYCLE_1)
	s_or_b32 exec_lo, exec_lo, s56
	s_mul_u64 s[46:47], s[46:47], s[4:5]
	s_add_nc_u64 s[24:25], s[24:25], 0xffff
	v_lshl_add_u64 v[14:15], s[46:47], 2, v[12:13]
	s_mul_u64 s[46:47], s[52:53], s[6:7]
	v_cmp_ge_i64_e64 s2, s[24:25], s[10:11]
	s_delay_alu instid0(VALU_DEP_2) | instskip(SKIP_2) | instid1(VALU_DEP_1)
	v_lshl_add_u64 v[14:15], s[46:47], 2, v[14:15]
	s_mul_u64 s[46:47], s[54:55], s[8:9]
	s_and_b32 vcc_lo, exec_lo, s2
	v_lshl_add_u64 v[14:15], s[46:47], 2, v[14:15]
	s_wait_loadcnt 0x0
	global_store_b32 v[14:15], v20, off
	s_cbranch_vccnz .LBB3_17
.LBB3_22:                               ;   Parent Loop BB3_18 Depth=1
                                        ; =>  This Inner Loop Header: Depth=2
	s_or_b64 s[46:47], s[24:25], s[12:13]
	s_delay_alu instid0(SALU_CYCLE_1) | instskip(NEXT) | instid1(SALU_CYCLE_1)
	s_and_b64 s[46:47], s[46:47], 0xffffffff00000000
	s_cmp_lg_u64 s[46:47], 0
	s_cbranch_scc0 .LBB3_34
; %bb.23:                               ;   in Loop: Header=BB3_22 Depth=2
	s_ashr_i32 s46, s13, 31
	s_delay_alu instid0(SALU_CYCLE_1) | instskip(NEXT) | instid1(SALU_CYCLE_1)
	s_mov_b32 s47, s46
	s_add_nc_u64 s[52:53], s[12:13], s[46:47]
	s_delay_alu instid0(SALU_CYCLE_1) | instskip(NEXT) | instid1(SALU_CYCLE_1)
	s_xor_b64 s[52:53], s[52:53], s[46:47]
	s_cvt_f32_u32 s2, s52
	s_cvt_f32_u32 s54, s53
	s_sub_nc_u64 s[56:57], 0, s[52:53]
	s_delay_alu instid0(SALU_CYCLE_2) | instskip(NEXT) | instid1(SALU_CYCLE_3)
	s_fmamk_f32 s2, s54, 0x4f800000, s2
	v_s_rcp_f32 s2, s2
	s_delay_alu instid0(TRANS32_DEP_1) | instskip(NEXT) | instid1(SALU_CYCLE_3)
	s_mul_f32 s2, s2, 0x5f7ffffc
	s_mul_f32 s54, s2, 0x2f800000
	s_delay_alu instid0(SALU_CYCLE_3) | instskip(NEXT) | instid1(SALU_CYCLE_3)
	s_trunc_f32 s54, s54
	s_fmamk_f32 s2, s54, 0xcf800000, s2
	s_cvt_u32_f32 s55, s54
	s_delay_alu instid0(SALU_CYCLE_2) | instskip(NEXT) | instid1(SALU_CYCLE_3)
	s_cvt_u32_f32 s54, s2
	s_mul_u64 s[62:63], s[56:57], s[54:55]
	s_delay_alu instid0(SALU_CYCLE_1)
	s_mul_hi_u32 s65, s54, s63
	s_mul_i32 s64, s54, s63
	s_mul_hi_u32 s2, s54, s62
	s_mul_i32 s67, s55, s62
	s_add_nc_u64 s[64:65], s[2:3], s[64:65]
	s_mul_hi_u32 s66, s55, s62
	s_mul_hi_u32 s68, s55, s63
	s_add_co_u32 s2, s64, s67
	s_add_co_ci_u32 s2, s65, s66
	s_mul_i32 s62, s55, s63
	s_add_co_ci_u32 s63, s68, 0
	s_delay_alu instid0(SALU_CYCLE_1) | instskip(NEXT) | instid1(SALU_CYCLE_1)
	s_add_nc_u64 s[62:63], s[2:3], s[62:63]
	s_add_co_u32 s54, s54, s62
	s_cselect_b32 s2, -1, 0
	s_delay_alu instid0(SALU_CYCLE_1) | instskip(SKIP_1) | instid1(SALU_CYCLE_1)
	s_cmp_lg_u32 s2, 0
	s_add_co_ci_u32 s55, s55, s63
	s_mul_u64 s[56:57], s[56:57], s[54:55]
	s_delay_alu instid0(SALU_CYCLE_1)
	s_mul_hi_u32 s63, s54, s57
	s_mul_i32 s62, s54, s57
	s_mul_hi_u32 s2, s54, s56
	s_mul_i32 s65, s55, s56
	s_add_nc_u64 s[62:63], s[2:3], s[62:63]
	s_mul_hi_u32 s64, s55, s56
	s_mul_hi_u32 s66, s55, s57
	s_add_co_u32 s2, s62, s65
	s_add_co_ci_u32 s2, s63, s64
	s_mul_i32 s56, s55, s57
	s_add_co_ci_u32 s57, s66, 0
	s_delay_alu instid0(SALU_CYCLE_1) | instskip(NEXT) | instid1(SALU_CYCLE_1)
	s_add_nc_u64 s[56:57], s[2:3], s[56:57]
	s_add_co_u32 s64, s54, s56
	s_cselect_b32 s2, -1, 0
	s_delay_alu instid0(SALU_CYCLE_1) | instskip(SKIP_2) | instid1(SALU_CYCLE_1)
	s_cmp_lg_u32 s2, 0
	s_add_co_ci_u32 s65, s55, s57
	s_ashr_i32 s54, s25, 31
	s_mov_b32 s55, s54
	s_delay_alu instid0(SALU_CYCLE_1) | instskip(NEXT) | instid1(SALU_CYCLE_1)
	s_add_nc_u64 s[56:57], s[24:25], s[54:55]
	s_xor_b64 s[56:57], s[56:57], s[54:55]
	s_delay_alu instid0(SALU_CYCLE_1)
	s_mul_hi_u32 s63, s56, s65
	s_mul_i32 s62, s56, s65
	s_mul_hi_u32 s2, s56, s64
	s_mul_i32 s68, s57, s64
	s_add_nc_u64 s[62:63], s[2:3], s[62:63]
	s_mul_hi_u32 s67, s57, s64
	s_mul_hi_u32 s66, s57, s65
	s_add_co_u32 s2, s62, s68
	s_add_co_ci_u32 s2, s63, s67
	s_mul_i32 s64, s57, s65
	s_add_co_ci_u32 s65, s66, 0
	s_delay_alu instid0(SALU_CYCLE_1) | instskip(NEXT) | instid1(SALU_CYCLE_1)
	s_add_nc_u64 s[62:63], s[2:3], s[64:65]
	s_and_b64 s[64:65], s[62:63], 0xffffffff00000000
	s_delay_alu instid0(SALU_CYCLE_1) | instskip(NEXT) | instid1(SALU_CYCLE_1)
	s_or_b32 s64, s64, s62
	s_mul_u64 s[62:63], s[52:53], s[64:65]
	s_delay_alu instid0(SALU_CYCLE_1)
	s_sub_co_u32 s2, s56, s62
	s_cselect_b32 s56, -1, 0
	s_sub_co_i32 s62, s57, s63
	s_cmp_lg_u32 s56, 0
	s_sub_co_ci_u32 s62, s62, s53
	s_sub_co_u32 s66, s2, s52
	s_cselect_b32 s67, -1, 0
	s_delay_alu instid0(SALU_CYCLE_1) | instskip(SKIP_1) | instid1(SALU_CYCLE_1)
	s_cmp_lg_u32 s67, 0
	s_sub_co_ci_u32 s62, s62, 0
	s_cmp_ge_u32 s62, s53
	s_cselect_b32 s68, -1, 0
	s_cmp_ge_u32 s66, s52
	s_add_nc_u64 s[66:67], s[64:65], 1
	s_cselect_b32 s69, -1, 0
	s_cmp_eq_u32 s62, s53
	s_cselect_b32 s62, s69, s68
	s_add_nc_u64 s[68:69], s[64:65], 2
	s_cmp_lg_u32 s62, 0
	s_cselect_b32 s62, s68, s66
	s_cselect_b32 s66, s69, s67
	s_cmp_lg_u32 s56, 0
	s_sub_co_ci_u32 s56, s57, s63
	s_delay_alu instid0(SALU_CYCLE_1)
	s_cmp_ge_u32 s56, s53
	s_cselect_b32 s57, -1, 0
	s_cmp_ge_u32 s2, s52
	s_cselect_b32 s2, -1, 0
	s_cmp_eq_u32 s56, s53
	s_cselect_b32 s2, s2, s57
	s_delay_alu instid0(SALU_CYCLE_1) | instskip(SKIP_3) | instid1(SALU_CYCLE_1)
	s_cmp_lg_u32 s2, 0
	s_cselect_b32 s53, s66, s65
	s_cselect_b32 s52, s62, s64
	s_xor_b64 s[46:47], s[54:55], s[46:47]
	s_xor_b64 s[52:53], s[52:53], s[46:47]
	s_delay_alu instid0(SALU_CYCLE_1)
	s_sub_nc_u64 s[46:47], s[52:53], s[46:47]
	s_cbranch_execnz .LBB3_25
.LBB3_24:                               ;   in Loop: Header=BB3_22 Depth=2
	v_nop
	v_readfirstlane_b32 s2, v18
	s_sub_co_i32 s46, 0, s12
	s_delay_alu instid0(SALU_CYCLE_1) | instskip(NEXT) | instid1(SALU_CYCLE_1)
	s_mul_i32 s46, s46, s2
	s_mul_hi_u32 s46, s2, s46
	s_delay_alu instid0(SALU_CYCLE_1) | instskip(NEXT) | instid1(SALU_CYCLE_1)
	s_add_co_i32 s2, s2, s46
	s_mul_hi_u32 s2, s24, s2
	s_delay_alu instid0(SALU_CYCLE_1) | instskip(SKIP_2) | instid1(SALU_CYCLE_1)
	s_mul_i32 s46, s2, s12
	s_add_co_i32 s47, s2, 1
	s_sub_co_i32 s46, s24, s46
	s_sub_co_i32 s52, s46, s12
	s_cmp_ge_u32 s46, s12
	s_cselect_b32 s2, s47, s2
	s_cselect_b32 s46, s52, s46
	s_add_co_i32 s47, s2, 1
	s_cmp_ge_u32 s46, s12
	s_cselect_b32 s2, s47, s2
	s_delay_alu instid0(SALU_CYCLE_1)
	s_mov_b64 s[46:47], s[2:3]
.LBB3_25:                               ;   in Loop: Header=BB3_22 Depth=2
	s_delay_alu instid0(SALU_CYCLE_1) | instskip(NEXT) | instid1(SALU_CYCLE_1)
	s_mul_u64 s[52:53], s[20:21], s[46:47]
	s_add_nc_u64 s[54:55], s[24:25], s[52:53]
	s_delay_alu instid0(SALU_CYCLE_1) | instskip(NEXT) | instid1(SALU_CYCLE_1)
	s_or_b64 s[52:53], s[54:55], s[28:29]
	s_and_b64 s[52:53], s[52:53], 0xffffffff00000000
	s_delay_alu instid0(SALU_CYCLE_1)
	s_cmp_lg_u64 s[52:53], 0
	s_cbranch_scc0 .LBB3_35
; %bb.26:                               ;   in Loop: Header=BB3_22 Depth=2
	s_ashr_i32 s52, s29, 31
	s_delay_alu instid0(SALU_CYCLE_1) | instskip(NEXT) | instid1(SALU_CYCLE_1)
	s_mov_b32 s53, s52
	s_add_nc_u64 s[56:57], s[28:29], s[52:53]
	s_delay_alu instid0(SALU_CYCLE_1) | instskip(NEXT) | instid1(SALU_CYCLE_1)
	s_xor_b64 s[56:57], s[56:57], s[52:53]
	s_cvt_f32_u32 s2, s56
	s_cvt_f32_u32 s62, s57
	s_sub_nc_u64 s[64:65], 0, s[56:57]
	s_delay_alu instid0(SALU_CYCLE_2) | instskip(NEXT) | instid1(SALU_CYCLE_3)
	s_fmamk_f32 s2, s62, 0x4f800000, s2
	v_s_rcp_f32 s2, s2
	s_delay_alu instid0(TRANS32_DEP_1) | instskip(NEXT) | instid1(SALU_CYCLE_3)
	s_mul_f32 s2, s2, 0x5f7ffffc
	s_mul_f32 s62, s2, 0x2f800000
	s_delay_alu instid0(SALU_CYCLE_3) | instskip(NEXT) | instid1(SALU_CYCLE_3)
	s_trunc_f32 s62, s62
	s_fmamk_f32 s2, s62, 0xcf800000, s2
	s_cvt_u32_f32 s63, s62
	s_delay_alu instid0(SALU_CYCLE_2) | instskip(NEXT) | instid1(SALU_CYCLE_3)
	s_cvt_u32_f32 s62, s2
	s_mul_u64 s[66:67], s[64:65], s[62:63]
	s_delay_alu instid0(SALU_CYCLE_1)
	s_mul_hi_u32 s69, s62, s67
	s_mul_i32 s68, s62, s67
	s_mul_hi_u32 s2, s62, s66
	s_mul_i32 s71, s63, s66
	s_add_nc_u64 s[68:69], s[2:3], s[68:69]
	s_mul_hi_u32 s70, s63, s66
	s_mul_hi_u32 s72, s63, s67
	s_add_co_u32 s2, s68, s71
	s_add_co_ci_u32 s2, s69, s70
	s_mul_i32 s66, s63, s67
	s_add_co_ci_u32 s67, s72, 0
	s_delay_alu instid0(SALU_CYCLE_1) | instskip(NEXT) | instid1(SALU_CYCLE_1)
	s_add_nc_u64 s[66:67], s[2:3], s[66:67]
	s_add_co_u32 s62, s62, s66
	s_cselect_b32 s2, -1, 0
	s_delay_alu instid0(SALU_CYCLE_1) | instskip(SKIP_1) | instid1(SALU_CYCLE_1)
	s_cmp_lg_u32 s2, 0
	s_add_co_ci_u32 s63, s63, s67
	s_mul_u64 s[64:65], s[64:65], s[62:63]
	s_delay_alu instid0(SALU_CYCLE_1)
	s_mul_hi_u32 s67, s62, s65
	s_mul_i32 s66, s62, s65
	s_mul_hi_u32 s2, s62, s64
	s_mul_i32 s69, s63, s64
	s_add_nc_u64 s[66:67], s[2:3], s[66:67]
	s_mul_hi_u32 s68, s63, s64
	s_mul_hi_u32 s70, s63, s65
	s_add_co_u32 s2, s66, s69
	s_add_co_ci_u32 s2, s67, s68
	s_mul_i32 s64, s63, s65
	s_add_co_ci_u32 s65, s70, 0
	s_delay_alu instid0(SALU_CYCLE_1) | instskip(NEXT) | instid1(SALU_CYCLE_1)
	s_add_nc_u64 s[64:65], s[2:3], s[64:65]
	s_add_co_u32 s68, s62, s64
	s_cselect_b32 s2, -1, 0
	s_delay_alu instid0(SALU_CYCLE_1) | instskip(SKIP_2) | instid1(SALU_CYCLE_1)
	s_cmp_lg_u32 s2, 0
	s_add_co_ci_u32 s69, s63, s65
	s_ashr_i32 s62, s55, 31
	s_mov_b32 s63, s62
	s_delay_alu instid0(SALU_CYCLE_1) | instskip(NEXT) | instid1(SALU_CYCLE_1)
	s_add_nc_u64 s[64:65], s[54:55], s[62:63]
	s_xor_b64 s[64:65], s[64:65], s[62:63]
	s_delay_alu instid0(SALU_CYCLE_1)
	s_mul_hi_u32 s67, s64, s69
	s_mul_i32 s66, s64, s69
	s_mul_hi_u32 s2, s64, s68
	s_mul_i32 s71, s65, s68
	s_add_nc_u64 s[66:67], s[2:3], s[66:67]
	s_mul_hi_u32 s70, s65, s68
	s_mul_hi_u32 s55, s65, s69
	s_add_co_u32 s2, s66, s71
	s_add_co_ci_u32 s2, s67, s70
	s_mul_i32 s68, s65, s69
	s_add_co_ci_u32 s69, s55, 0
	s_delay_alu instid0(SALU_CYCLE_1) | instskip(NEXT) | instid1(SALU_CYCLE_1)
	s_add_nc_u64 s[66:67], s[2:3], s[68:69]
	s_and_b64 s[68:69], s[66:67], 0xffffffff00000000
	s_delay_alu instid0(SALU_CYCLE_1) | instskip(NEXT) | instid1(SALU_CYCLE_1)
	s_or_b32 s68, s68, s66
	s_mul_u64 s[66:67], s[56:57], s[68:69]
	s_delay_alu instid0(SALU_CYCLE_1)
	s_sub_co_u32 s2, s64, s66
	s_cselect_b32 s55, -1, 0
	s_sub_co_i32 s64, s65, s67
	s_cmp_lg_u32 s55, 0
	s_sub_co_ci_u32 s64, s64, s57
	s_sub_co_u32 s66, s2, s56
	s_cselect_b32 s70, -1, 0
	s_delay_alu instid0(SALU_CYCLE_1) | instskip(SKIP_2) | instid1(SALU_CYCLE_1)
	s_cmp_lg_u32 s70, 0
	s_add_nc_u64 s[70:71], s[68:69], 1
	s_sub_co_ci_u32 s64, s64, 0
	s_cmp_ge_u32 s64, s57
	s_cselect_b32 s72, -1, 0
	s_cmp_ge_u32 s66, s56
	s_cselect_b32 s66, -1, 0
	s_cmp_eq_u32 s64, s57
	s_cselect_b32 s64, s66, s72
	s_add_nc_u64 s[72:73], s[68:69], 2
	s_cmp_lg_u32 s64, 0
	s_cselect_b32 s64, s72, s70
	s_cselect_b32 s66, s73, s71
	s_cmp_lg_u32 s55, 0
	s_sub_co_ci_u32 s55, s65, s67
	s_delay_alu instid0(SALU_CYCLE_1)
	s_cmp_ge_u32 s55, s57
	s_cselect_b32 s65, -1, 0
	s_cmp_ge_u32 s2, s56
	s_cselect_b32 s2, -1, 0
	s_cmp_eq_u32 s55, s57
	s_cselect_b32 s2, s2, s65
	s_delay_alu instid0(SALU_CYCLE_1) | instskip(SKIP_3) | instid1(SALU_CYCLE_1)
	s_cmp_lg_u32 s2, 0
	s_cselect_b32 s57, s66, s69
	s_cselect_b32 s56, s64, s68
	s_xor_b64 s[52:53], s[62:63], s[52:53]
	s_xor_b64 s[56:57], s[56:57], s[52:53]
	s_delay_alu instid0(SALU_CYCLE_1)
	s_sub_nc_u64 s[52:53], s[56:57], s[52:53]
	s_cbranch_execnz .LBB3_28
.LBB3_27:                               ;   in Loop: Header=BB3_22 Depth=2
	v_nop
	v_readfirstlane_b32 s2, v19
	s_sub_co_i32 s52, 0, s28
	s_delay_alu instid0(SALU_CYCLE_1) | instskip(NEXT) | instid1(SALU_CYCLE_1)
	s_mul_i32 s52, s52, s2
	s_mul_hi_u32 s52, s2, s52
	s_delay_alu instid0(SALU_CYCLE_1) | instskip(NEXT) | instid1(SALU_CYCLE_1)
	s_add_co_i32 s2, s2, s52
	s_mul_hi_u32 s2, s54, s2
	s_delay_alu instid0(SALU_CYCLE_1) | instskip(SKIP_2) | instid1(SALU_CYCLE_1)
	s_mul_i32 s52, s2, s28
	s_add_co_i32 s53, s2, 1
	s_sub_co_i32 s52, s54, s52
	s_sub_co_i32 s54, s52, s28
	s_cmp_ge_u32 s52, s28
	s_cselect_b32 s2, s53, s2
	s_cselect_b32 s52, s54, s52
	s_add_co_i32 s53, s2, 1
	s_cmp_ge_u32 s52, s28
	s_cselect_b32 s2, s53, s2
	s_delay_alu instid0(SALU_CYCLE_1)
	s_mov_b64 s[52:53], s[2:3]
.LBB3_28:                               ;   in Loop: Header=BB3_22 Depth=2
	s_or_b64 s[54:55], s[24:25], s[28:29]
	s_delay_alu instid0(SALU_CYCLE_1) | instskip(NEXT) | instid1(SALU_CYCLE_1)
	s_and_b64 s[54:55], s[54:55], 0xffffffff00000000
	s_cmp_lg_u64 s[54:55], 0
	s_cbranch_scc0 .LBB3_36
; %bb.29:                               ;   in Loop: Header=BB3_22 Depth=2
	s_ashr_i32 s54, s29, 31
	s_delay_alu instid0(SALU_CYCLE_1) | instskip(NEXT) | instid1(SALU_CYCLE_1)
	s_mov_b32 s55, s54
	s_add_nc_u64 s[56:57], s[28:29], s[54:55]
	s_delay_alu instid0(SALU_CYCLE_1) | instskip(NEXT) | instid1(SALU_CYCLE_1)
	s_xor_b64 s[54:55], s[56:57], s[54:55]
	s_cvt_f32_u32 s2, s54
	s_cvt_f32_u32 s56, s55
	s_sub_nc_u64 s[62:63], 0, s[54:55]
	s_delay_alu instid0(SALU_CYCLE_2) | instskip(NEXT) | instid1(SALU_CYCLE_3)
	s_fmamk_f32 s2, s56, 0x4f800000, s2
	v_s_rcp_f32 s2, s2
	s_delay_alu instid0(TRANS32_DEP_1) | instskip(NEXT) | instid1(SALU_CYCLE_3)
	s_mul_f32 s2, s2, 0x5f7ffffc
	s_mul_f32 s56, s2, 0x2f800000
	s_delay_alu instid0(SALU_CYCLE_3) | instskip(NEXT) | instid1(SALU_CYCLE_3)
	s_trunc_f32 s56, s56
	s_fmamk_f32 s2, s56, 0xcf800000, s2
	s_cvt_u32_f32 s57, s56
	s_delay_alu instid0(SALU_CYCLE_2) | instskip(NEXT) | instid1(SALU_CYCLE_3)
	s_cvt_u32_f32 s56, s2
	s_mul_u64 s[64:65], s[62:63], s[56:57]
	s_delay_alu instid0(SALU_CYCLE_1)
	s_mul_hi_u32 s67, s56, s65
	s_mul_i32 s66, s56, s65
	s_mul_hi_u32 s2, s56, s64
	s_mul_i32 s69, s57, s64
	s_add_nc_u64 s[66:67], s[2:3], s[66:67]
	s_mul_hi_u32 s68, s57, s64
	s_mul_hi_u32 s70, s57, s65
	s_add_co_u32 s2, s66, s69
	s_add_co_ci_u32 s2, s67, s68
	s_mul_i32 s64, s57, s65
	s_add_co_ci_u32 s65, s70, 0
	s_delay_alu instid0(SALU_CYCLE_1) | instskip(NEXT) | instid1(SALU_CYCLE_1)
	s_add_nc_u64 s[64:65], s[2:3], s[64:65]
	s_add_co_u32 s56, s56, s64
	s_cselect_b32 s2, -1, 0
	s_delay_alu instid0(SALU_CYCLE_1) | instskip(SKIP_1) | instid1(SALU_CYCLE_1)
	s_cmp_lg_u32 s2, 0
	s_add_co_ci_u32 s57, s57, s65
	s_mul_u64 s[62:63], s[62:63], s[56:57]
	s_delay_alu instid0(SALU_CYCLE_1)
	s_mul_hi_u32 s65, s56, s63
	s_mul_i32 s64, s56, s63
	s_mul_hi_u32 s2, s56, s62
	s_mul_i32 s67, s57, s62
	s_add_nc_u64 s[64:65], s[2:3], s[64:65]
	s_mul_hi_u32 s66, s57, s62
	s_mul_hi_u32 s68, s57, s63
	s_add_co_u32 s2, s64, s67
	s_add_co_ci_u32 s2, s65, s66
	s_mul_i32 s62, s57, s63
	s_add_co_ci_u32 s63, s68, 0
	s_delay_alu instid0(SALU_CYCLE_1) | instskip(NEXT) | instid1(SALU_CYCLE_1)
	s_add_nc_u64 s[62:63], s[2:3], s[62:63]
	s_add_co_u32 s66, s56, s62
	s_cselect_b32 s2, -1, 0
	s_delay_alu instid0(SALU_CYCLE_1) | instskip(SKIP_2) | instid1(SALU_CYCLE_1)
	s_cmp_lg_u32 s2, 0
	s_add_co_ci_u32 s67, s57, s63
	s_ashr_i32 s56, s25, 31
	s_mov_b32 s57, s56
	s_delay_alu instid0(SALU_CYCLE_1) | instskip(NEXT) | instid1(SALU_CYCLE_1)
	s_add_nc_u64 s[62:63], s[24:25], s[56:57]
	s_xor_b64 s[62:63], s[62:63], s[56:57]
	s_delay_alu instid0(SALU_CYCLE_1)
	s_mul_hi_u32 s65, s62, s67
	s_mul_i32 s64, s62, s67
	s_mul_hi_u32 s2, s62, s66
	s_mul_i32 s70, s63, s66
	s_add_nc_u64 s[64:65], s[2:3], s[64:65]
	s_mul_hi_u32 s69, s63, s66
	s_mul_hi_u32 s68, s63, s67
	s_add_co_u32 s2, s64, s70
	s_add_co_ci_u32 s2, s65, s69
	s_mul_i32 s66, s63, s67
	s_add_co_ci_u32 s67, s68, 0
	s_delay_alu instid0(SALU_CYCLE_1) | instskip(NEXT) | instid1(SALU_CYCLE_1)
	s_add_nc_u64 s[64:65], s[2:3], s[66:67]
	s_and_b64 s[66:67], s[64:65], 0xffffffff00000000
	s_delay_alu instid0(SALU_CYCLE_1) | instskip(NEXT) | instid1(SALU_CYCLE_1)
	s_or_b32 s66, s66, s64
	s_mul_u64 s[64:65], s[54:55], s[66:67]
	s_delay_alu instid0(SALU_CYCLE_1)
	s_sub_co_u32 s2, s62, s64
	s_cselect_b32 s62, -1, 0
	s_sub_co_i32 s64, s63, s65
	s_cmp_lg_u32 s62, 0
	s_sub_co_ci_u32 s64, s64, s55
	s_sub_co_u32 s66, s2, s54
	s_cselect_b32 s67, -1, 0
	s_delay_alu instid0(SALU_CYCLE_1) | instskip(SKIP_1) | instid1(SALU_CYCLE_1)
	s_cmp_lg_u32 s67, 0
	s_sub_co_ci_u32 s68, s64, 0
	s_cmp_ge_u32 s68, s55
	s_cselect_b32 s69, -1, 0
	s_cmp_ge_u32 s66, s54
	s_cselect_b32 s70, -1, 0
	s_cmp_eq_u32 s68, s55
	s_cselect_b32 s69, s70, s69
	s_cmp_lg_u32 s67, 0
	s_sub_co_ci_u32 s64, s64, s55
	s_sub_co_u32 s67, s66, s54
	s_cselect_b32 s70, -1, 0
	s_delay_alu instid0(SALU_CYCLE_1)
	s_cmp_lg_u32 s70, 0
	s_sub_co_ci_u32 s64, s64, 0
	s_cmp_lg_u32 s69, 0
	s_cselect_b32 s66, s67, s66
	s_cselect_b32 s64, s64, s68
	s_cmp_lg_u32 s62, 0
	s_sub_co_ci_u32 s62, s63, s65
	s_delay_alu instid0(SALU_CYCLE_1)
	s_cmp_ge_u32 s62, s55
	s_cselect_b32 s63, -1, 0
	s_cmp_ge_u32 s2, s54
	s_cselect_b32 s54, -1, 0
	s_cmp_eq_u32 s62, s55
	s_cselect_b32 s54, s54, s63
	s_delay_alu instid0(SALU_CYCLE_1) | instskip(SKIP_2) | instid1(SALU_CYCLE_1)
	s_cmp_lg_u32 s54, 0
	s_cselect_b32 s55, s64, s62
	s_cselect_b32 s54, s66, s2
	s_xor_b64 s[54:55], s[54:55], s[56:57]
	s_delay_alu instid0(SALU_CYCLE_1)
	s_sub_nc_u64 s[54:55], s[54:55], s[56:57]
	s_cbranch_execnz .LBB3_31
.LBB3_30:                               ;   in Loop: Header=BB3_22 Depth=2
	v_nop
	v_readfirstlane_b32 s2, v19
	s_sub_co_i32 s54, 0, s28
	s_delay_alu instid0(SALU_CYCLE_1) | instskip(NEXT) | instid1(SALU_CYCLE_1)
	s_mul_i32 s54, s54, s2
	s_mul_hi_u32 s54, s2, s54
	s_delay_alu instid0(SALU_CYCLE_1) | instskip(NEXT) | instid1(SALU_CYCLE_1)
	s_add_co_i32 s2, s2, s54
	s_mul_hi_u32 s2, s24, s2
	s_delay_alu instid0(SALU_CYCLE_1) | instskip(NEXT) | instid1(SALU_CYCLE_1)
	s_mul_i32 s2, s2, s28
	s_sub_co_i32 s2, s24, s2
	s_delay_alu instid0(SALU_CYCLE_1) | instskip(SKIP_2) | instid1(SALU_CYCLE_1)
	s_sub_co_i32 s54, s2, s28
	s_cmp_ge_u32 s2, s28
	s_cselect_b32 s2, s54, s2
	s_sub_co_i32 s54, s2, s28
	s_cmp_ge_u32 s2, s28
	s_cselect_b32 s2, s54, s2
	s_delay_alu instid0(SALU_CYCLE_1)
	s_mov_b64 s[54:55], s[2:3]
.LBB3_31:                               ;   in Loop: Header=BB3_22 Depth=2
	s_wait_xcnt 0x0
	v_mad_nc_u64_u32 v[14:15], s54, s60, v[6:7]
	s_mul_i32 s2, s55, s60
	s_mul_i32 s56, s54, s23
	v_mov_b32_e32 v20, 0
	s_delay_alu instid0(VALU_DEP_2) | instskip(NEXT) | instid1(VALU_DEP_1)
	v_add3_u32 v15, s56, s2, v15
	v_cmp_gt_i64_e32 vcc_lo, 0, v[14:15]
	v_cmp_le_i64_e64 s2, s[40:41], v[14:15]
	s_or_b32 s2, vcc_lo, s2
	s_delay_alu instid0(SALU_CYCLE_1) | instskip(NEXT) | instid1(SALU_CYCLE_1)
	s_nor_b32 s2, s2, s0
	s_and_saveexec_b32 s56, s2
	s_cbranch_execz .LBB3_21
; %bb.32:                               ;   in Loop: Header=BB3_22 Depth=2
	v_mad_nc_u64_u32 v[16:17], s52, s22, v[8:9]
	s_mul_i32 s2, s53, s22
	s_mul_i32 s57, s52, s61
	v_mov_b32_e32 v20, 0
	s_delay_alu instid0(VALU_DEP_2) | instskip(NEXT) | instid1(VALU_DEP_1)
	v_add3_u32 v17, s57, s2, v17
	v_cmp_lt_i64_e32 vcc_lo, -1, v[16:17]
	v_cmp_gt_i64_e64 s2, s[38:39], v[16:17]
	s_and_b32 s2, vcc_lo, s2
	s_delay_alu instid0(SALU_CYCLE_1) | instskip(NEXT) | instid1(SALU_CYCLE_1)
	s_and_b32 s57, s1, s2
	s_and_saveexec_b32 s2, s57
	s_cbranch_execz .LBB3_20
; %bb.33:                               ;   in Loop: Header=BB3_22 Depth=2
	v_mad_nc_u64_u32 v[20:21], s46, s36, v[0:1]
	s_mul_i32 s57, s47, s36
	s_mul_i32 s62, s46, s37
	v_mul_u64_e32 v[16:17], s[16:17], v[16:17]
	v_mul_u64_e32 v[14:15], s[18:19], v[14:15]
	s_delay_alu instid0(VALU_DEP_3) | instskip(NEXT) | instid1(VALU_DEP_1)
	v_add3_u32 v21, s62, s57, v21
	v_mul_u64_e32 v[20:21], s[14:15], v[20:21]
	s_delay_alu instid0(VALU_DEP_1) | instskip(NEXT) | instid1(VALU_DEP_1)
	v_lshl_add_u64 v[20:21], v[20:21], 2, s[44:45]
	v_lshl_add_u64 v[16:17], v[16:17], 2, v[20:21]
	s_delay_alu instid0(VALU_DEP_1) | instskip(NEXT) | instid1(VALU_DEP_1)
	v_lshl_add_u64 v[14:15], v[14:15], 2, v[16:17]
	v_lshl_add_u64 v[14:15], v[10:11], 2, v[14:15]
	global_load_b32 v20, v[14:15], off
	s_branch .LBB3_20
.LBB3_34:                               ;   in Loop: Header=BB3_22 Depth=2
                                        ; implicit-def: $sgpr46_sgpr47
	s_branch .LBB3_24
.LBB3_35:                               ;   in Loop: Header=BB3_22 Depth=2
                                        ; implicit-def: $sgpr52_sgpr53
	s_branch .LBB3_27
.LBB3_36:                               ;   in Loop: Header=BB3_22 Depth=2
                                        ; implicit-def: $sgpr54_sgpr55
	s_branch .LBB3_30
.LBB3_37:
	s_endpgm
.LBB3_38:
                                        ; implicit-def: $vgpr0_vgpr1
	s_branch .LBB3_3
.LBB3_39:
                                        ; implicit-def: $vgpr2_vgpr3
	v_cvt_f32_u32_e32 v16, s36
	s_branch .LBB3_7
	.section	.rodata,"a",@progbits
	.p2align	6, 0x0
	.amdhsa_kernel _ZL16im2col_3d_kernelIfEvPKfPT_llllllllllllllllllllllllllllliiiiiiiii
		.amdhsa_group_segment_fixed_size 0
		.amdhsa_private_segment_fixed_size 0
		.amdhsa_kernarg_size 544
		.amdhsa_user_sgpr_count 2
		.amdhsa_user_sgpr_dispatch_ptr 0
		.amdhsa_user_sgpr_queue_ptr 0
		.amdhsa_user_sgpr_kernarg_segment_ptr 1
		.amdhsa_user_sgpr_dispatch_id 0
		.amdhsa_user_sgpr_kernarg_preload_length 0
		.amdhsa_user_sgpr_kernarg_preload_offset 0
		.amdhsa_user_sgpr_private_segment_size 0
		.amdhsa_wavefront_size32 1
		.amdhsa_uses_dynamic_stack 0
		.amdhsa_enable_private_segment 0
		.amdhsa_system_sgpr_workgroup_id_x 1
		.amdhsa_system_sgpr_workgroup_id_y 1
		.amdhsa_system_sgpr_workgroup_id_z 1
		.amdhsa_system_sgpr_workgroup_info 0
		.amdhsa_system_vgpr_workitem_id 0
		.amdhsa_next_free_vgpr 26
		.amdhsa_next_free_sgpr 74
		.amdhsa_named_barrier_count 0
		.amdhsa_reserve_vcc 1
		.amdhsa_float_round_mode_32 0
		.amdhsa_float_round_mode_16_64 0
		.amdhsa_float_denorm_mode_32 3
		.amdhsa_float_denorm_mode_16_64 3
		.amdhsa_fp16_overflow 0
		.amdhsa_memory_ordered 1
		.amdhsa_forward_progress 1
		.amdhsa_inst_pref_size 47
		.amdhsa_round_robin_scheduling 0
		.amdhsa_exception_fp_ieee_invalid_op 0
		.amdhsa_exception_fp_denorm_src 0
		.amdhsa_exception_fp_ieee_div_zero 0
		.amdhsa_exception_fp_ieee_overflow 0
		.amdhsa_exception_fp_ieee_underflow 0
		.amdhsa_exception_fp_ieee_inexact 0
		.amdhsa_exception_int_div_zero 0
	.end_amdhsa_kernel
	.section	.text._ZL16im2col_3d_kernelIfEvPKfPT_llllllllllllllllllllllllllllliiiiiiiii,"axG",@progbits,_ZL16im2col_3d_kernelIfEvPKfPT_llllllllllllllllllllllllllllliiiiiiiii,comdat
.Lfunc_end3:
	.size	_ZL16im2col_3d_kernelIfEvPKfPT_llllllllllllllllllllllllllllliiiiiiiii, .Lfunc_end3-_ZL16im2col_3d_kernelIfEvPKfPT_llllllllllllllllllllllllllllliiiiiiiii
                                        ; -- End function
	.set _ZL16im2col_3d_kernelIfEvPKfPT_llllllllllllllllllllllllllllliiiiiiiii.num_vgpr, 26
	.set _ZL16im2col_3d_kernelIfEvPKfPT_llllllllllllllllllllllllllllliiiiiiiii.num_agpr, 0
	.set _ZL16im2col_3d_kernelIfEvPKfPT_llllllllllllllllllllllllllllliiiiiiiii.numbered_sgpr, 74
	.set _ZL16im2col_3d_kernelIfEvPKfPT_llllllllllllllllllllllllllllliiiiiiiii.num_named_barrier, 0
	.set _ZL16im2col_3d_kernelIfEvPKfPT_llllllllllllllllllllllllllllliiiiiiiii.private_seg_size, 0
	.set _ZL16im2col_3d_kernelIfEvPKfPT_llllllllllllllllllllllllllllliiiiiiiii.uses_vcc, 1
	.set _ZL16im2col_3d_kernelIfEvPKfPT_llllllllllllllllllllllllllllliiiiiiiii.uses_flat_scratch, 0
	.set _ZL16im2col_3d_kernelIfEvPKfPT_llllllllllllllllllllllllllllliiiiiiiii.has_dyn_sized_stack, 0
	.set _ZL16im2col_3d_kernelIfEvPKfPT_llllllllllllllllllllllllllllliiiiiiiii.has_recursion, 0
	.set _ZL16im2col_3d_kernelIfEvPKfPT_llllllllllllllllllllllllllllliiiiiiiii.has_indirect_call, 0
	.section	.AMDGPU.csdata,"",@progbits
; Kernel info:
; codeLenInByte = 5932
; TotalNumSgprs: 76
; NumVgprs: 26
; ScratchSize: 0
; MemoryBound: 0
; FloatMode: 240
; IeeeMode: 1
; LDSByteSize: 0 bytes/workgroup (compile time only)
; SGPRBlocks: 0
; VGPRBlocks: 1
; NumSGPRsForWavesPerEU: 76
; NumVGPRsForWavesPerEU: 26
; NamedBarCnt: 0
; Occupancy: 16
; WaveLimiterHint : 1
; COMPUTE_PGM_RSRC2:SCRATCH_EN: 0
; COMPUTE_PGM_RSRC2:USER_SGPR: 2
; COMPUTE_PGM_RSRC2:TRAP_HANDLER: 0
; COMPUTE_PGM_RSRC2:TGID_X_EN: 1
; COMPUTE_PGM_RSRC2:TGID_Y_EN: 1
; COMPUTE_PGM_RSRC2:TGID_Z_EN: 1
; COMPUTE_PGM_RSRC2:TIDIG_COMP_CNT: 0
	.section	.AMDGPU.gpr_maximums,"",@progbits
	.set amdgpu.max_num_vgpr, 0
	.set amdgpu.max_num_agpr, 0
	.set amdgpu.max_num_sgpr, 0
	.section	.AMDGPU.csdata,"",@progbits
	.type	__hip_cuid_66c7a85c1fc32e69,@object ; @__hip_cuid_66c7a85c1fc32e69
	.section	.bss,"aw",@nobits
	.globl	__hip_cuid_66c7a85c1fc32e69
__hip_cuid_66c7a85c1fc32e69:
	.byte	0                               ; 0x0
	.size	__hip_cuid_66c7a85c1fc32e69, 1

	.ident	"AMD clang version 22.0.0git (https://github.com/RadeonOpenCompute/llvm-project roc-7.2.4 26084 f58b06dce1f9c15707c5f808fd002e18c2accf7e)"
	.section	".note.GNU-stack","",@progbits
	.addrsig
	.addrsig_sym __hip_cuid_66c7a85c1fc32e69
	.amdgpu_metadata
---
amdhsa.kernels:
  - .args:
      - .address_space:  global
        .offset:         0
        .size:           8
        .value_kind:     global_buffer
      - .address_space:  global
        .offset:         8
        .size:           8
        .value_kind:     global_buffer
      - .offset:         16
        .size:           8
        .value_kind:     by_value
      - .offset:         24
        .size:           8
        .value_kind:     by_value
      - .offset:         32
        .size:           8
        .value_kind:     by_value
      - .offset:         40
        .size:           8
        .value_kind:     by_value
      - .offset:         48
        .size:           8
        .value_kind:     by_value
      - .offset:         56
        .size:           8
        .value_kind:     by_value
      - .offset:         64
        .size:           8
        .value_kind:     by_value
      - .offset:         72
        .size:           8
        .value_kind:     by_value
      - .offset:         80
        .size:           8
        .value_kind:     by_value
      - .offset:         88
        .size:           8
        .value_kind:     by_value
      - .offset:         96
        .size:           8
        .value_kind:     by_value
      - .offset:         104
        .size:           8
        .value_kind:     by_value
      - .offset:         112
        .size:           4
        .value_kind:     by_value
      - .offset:         116
        .size:           4
        .value_kind:     by_value
      - .offset:         120
        .size:           4
        .value_kind:     by_value
      - .offset:         124
        .size:           4
        .value_kind:     by_value
      - .offset:         128
        .size:           4
        .value_kind:     by_value
      - .offset:         132
        .size:           4
        .value_kind:     by_value
      - .offset:         136
        .size:           4
        .value_kind:     hidden_block_count_x
      - .offset:         140
        .size:           4
        .value_kind:     hidden_block_count_y
      - .offset:         144
        .size:           4
        .value_kind:     hidden_block_count_z
      - .offset:         148
        .size:           2
        .value_kind:     hidden_group_size_x
      - .offset:         150
        .size:           2
        .value_kind:     hidden_group_size_y
      - .offset:         152
        .size:           2
        .value_kind:     hidden_group_size_z
      - .offset:         154
        .size:           2
        .value_kind:     hidden_remainder_x
      - .offset:         156
        .size:           2
        .value_kind:     hidden_remainder_y
      - .offset:         158
        .size:           2
        .value_kind:     hidden_remainder_z
      - .offset:         176
        .size:           8
        .value_kind:     hidden_global_offset_x
      - .offset:         184
        .size:           8
        .value_kind:     hidden_global_offset_y
      - .offset:         192
        .size:           8
        .value_kind:     hidden_global_offset_z
      - .offset:         200
        .size:           2
        .value_kind:     hidden_grid_dims
    .group_segment_fixed_size: 0
    .kernarg_segment_align: 8
    .kernarg_segment_size: 392
    .language:       OpenCL C
    .language_version:
      - 2
      - 0
    .max_flat_workgroup_size: 1024
    .name:           _ZL13im2col_kernelI6__halfEvPKfPT_lllllllllllliiiiii
    .private_segment_fixed_size: 0
    .sgpr_count:     52
    .sgpr_spill_count: 0
    .symbol:         _ZL13im2col_kernelI6__halfEvPKfPT_lllllllllllliiiiii.kd
    .uniform_work_group_size: 1
    .uses_dynamic_stack: false
    .vgpr_count:     22
    .vgpr_spill_count: 0
    .wavefront_size: 32
  - .args:
      - .address_space:  global
        .offset:         0
        .size:           8
        .value_kind:     global_buffer
      - .address_space:  global
        .offset:         8
        .size:           8
        .value_kind:     global_buffer
      - .offset:         16
        .size:           8
        .value_kind:     by_value
      - .offset:         24
        .size:           8
        .value_kind:     by_value
      - .offset:         32
        .size:           8
        .value_kind:     by_value
      - .offset:         40
        .size:           8
        .value_kind:     by_value
      - .offset:         48
        .size:           8
        .value_kind:     by_value
      - .offset:         56
        .size:           8
        .value_kind:     by_value
      - .offset:         64
        .size:           8
        .value_kind:     by_value
      - .offset:         72
        .size:           8
        .value_kind:     by_value
      - .offset:         80
        .size:           8
        .value_kind:     by_value
      - .offset:         88
        .size:           8
        .value_kind:     by_value
      - .offset:         96
        .size:           8
        .value_kind:     by_value
      - .offset:         104
        .size:           8
        .value_kind:     by_value
      - .offset:         112
        .size:           4
        .value_kind:     by_value
      - .offset:         116
        .size:           4
        .value_kind:     by_value
      - .offset:         120
        .size:           4
        .value_kind:     by_value
      - .offset:         124
        .size:           4
        .value_kind:     by_value
      - .offset:         128
        .size:           4
        .value_kind:     by_value
      - .offset:         132
        .size:           4
        .value_kind:     by_value
      - .offset:         136
        .size:           4
        .value_kind:     hidden_block_count_x
      - .offset:         140
        .size:           4
        .value_kind:     hidden_block_count_y
      - .offset:         144
        .size:           4
        .value_kind:     hidden_block_count_z
      - .offset:         148
        .size:           2
        .value_kind:     hidden_group_size_x
      - .offset:         150
        .size:           2
        .value_kind:     hidden_group_size_y
      - .offset:         152
        .size:           2
        .value_kind:     hidden_group_size_z
      - .offset:         154
        .size:           2
        .value_kind:     hidden_remainder_x
      - .offset:         156
        .size:           2
        .value_kind:     hidden_remainder_y
      - .offset:         158
        .size:           2
        .value_kind:     hidden_remainder_z
      - .offset:         176
        .size:           8
        .value_kind:     hidden_global_offset_x
      - .offset:         184
        .size:           8
        .value_kind:     hidden_global_offset_y
      - .offset:         192
        .size:           8
        .value_kind:     hidden_global_offset_z
      - .offset:         200
        .size:           2
        .value_kind:     hidden_grid_dims
    .group_segment_fixed_size: 0
    .kernarg_segment_align: 8
    .kernarg_segment_size: 392
    .language:       OpenCL C
    .language_version:
      - 2
      - 0
    .max_flat_workgroup_size: 1024
    .name:           _ZL13im2col_kernelIfEvPKfPT_lllllllllllliiiiii
    .private_segment_fixed_size: 0
    .sgpr_count:     52
    .sgpr_spill_count: 0
    .symbol:         _ZL13im2col_kernelIfEvPKfPT_lllllllllllliiiiii.kd
    .uniform_work_group_size: 1
    .uses_dynamic_stack: false
    .vgpr_count:     22
    .vgpr_spill_count: 0
    .wavefront_size: 32
  - .args:
      - .address_space:  global
        .offset:         0
        .size:           8
        .value_kind:     global_buffer
      - .address_space:  global
        .offset:         8
        .size:           8
        .value_kind:     global_buffer
      - .offset:         16
        .size:           8
        .value_kind:     by_value
      - .offset:         24
        .size:           8
        .value_kind:     by_value
      - .offset:         32
        .size:           8
        .value_kind:     by_value
      - .offset:         40
        .size:           8
        .value_kind:     by_value
      - .offset:         48
        .size:           8
        .value_kind:     by_value
      - .offset:         56
        .size:           8
        .value_kind:     by_value
      - .offset:         64
        .size:           8
        .value_kind:     by_value
      - .offset:         72
        .size:           8
        .value_kind:     by_value
      - .offset:         80
        .size:           8
        .value_kind:     by_value
      - .offset:         88
        .size:           8
        .value_kind:     by_value
      - .offset:         96
        .size:           8
        .value_kind:     by_value
      - .offset:         104
        .size:           8
        .value_kind:     by_value
      - .offset:         112
        .size:           8
        .value_kind:     by_value
      - .offset:         120
        .size:           8
        .value_kind:     by_value
      - .offset:         128
        .size:           8
        .value_kind:     by_value
      - .offset:         136
        .size:           8
        .value_kind:     by_value
      - .offset:         144
        .size:           8
        .value_kind:     by_value
      - .offset:         152
        .size:           8
        .value_kind:     by_value
      - .offset:         160
        .size:           8
        .value_kind:     by_value
      - .offset:         168
        .size:           8
        .value_kind:     by_value
      - .offset:         176
        .size:           8
        .value_kind:     by_value
      - .offset:         184
        .size:           8
        .value_kind:     by_value
      - .offset:         192
        .size:           8
        .value_kind:     by_value
      - .offset:         200
        .size:           8
        .value_kind:     by_value
      - .offset:         208
        .size:           8
        .value_kind:     by_value
      - .offset:         216
        .size:           8
        .value_kind:     by_value
      - .offset:         224
        .size:           8
        .value_kind:     by_value
      - .offset:         232
        .size:           8
        .value_kind:     by_value
      - .offset:         240
        .size:           8
        .value_kind:     by_value
      - .offset:         248
        .size:           4
        .value_kind:     by_value
      - .offset:         252
        .size:           4
        .value_kind:     by_value
      - .offset:         256
        .size:           4
        .value_kind:     by_value
      - .offset:         260
        .size:           4
        .value_kind:     by_value
      - .offset:         264
        .size:           4
        .value_kind:     by_value
      - .offset:         268
        .size:           4
        .value_kind:     by_value
      - .offset:         272
        .size:           4
        .value_kind:     by_value
      - .offset:         276
        .size:           4
        .value_kind:     by_value
      - .offset:         280
        .size:           4
        .value_kind:     by_value
      - .offset:         288
        .size:           4
        .value_kind:     hidden_block_count_x
      - .offset:         292
        .size:           4
        .value_kind:     hidden_block_count_y
      - .offset:         296
        .size:           4
        .value_kind:     hidden_block_count_z
      - .offset:         300
        .size:           2
        .value_kind:     hidden_group_size_x
      - .offset:         302
        .size:           2
        .value_kind:     hidden_group_size_y
      - .offset:         304
        .size:           2
        .value_kind:     hidden_group_size_z
      - .offset:         306
        .size:           2
        .value_kind:     hidden_remainder_x
      - .offset:         308
        .size:           2
        .value_kind:     hidden_remainder_y
      - .offset:         310
        .size:           2
        .value_kind:     hidden_remainder_z
      - .offset:         328
        .size:           8
        .value_kind:     hidden_global_offset_x
      - .offset:         336
        .size:           8
        .value_kind:     hidden_global_offset_y
      - .offset:         344
        .size:           8
        .value_kind:     hidden_global_offset_z
      - .offset:         352
        .size:           2
        .value_kind:     hidden_grid_dims
    .group_segment_fixed_size: 0
    .kernarg_segment_align: 8
    .kernarg_segment_size: 544
    .language:       OpenCL C
    .language_version:
      - 2
      - 0
    .max_flat_workgroup_size: 1024
    .name:           _ZL16im2col_3d_kernelI6__halfEvPKfPT_llllllllllllllllllllllllllllliiiiiiiii
    .private_segment_fixed_size: 0
    .sgpr_count:     78
    .sgpr_spill_count: 0
    .symbol:         _ZL16im2col_3d_kernelI6__halfEvPKfPT_llllllllllllllllllllllllllllliiiiiiiii.kd
    .uniform_work_group_size: 1
    .uses_dynamic_stack: false
    .vgpr_count:     26
    .vgpr_spill_count: 0
    .wavefront_size: 32
  - .args:
      - .address_space:  global
        .offset:         0
        .size:           8
        .value_kind:     global_buffer
      - .address_space:  global
        .offset:         8
        .size:           8
        .value_kind:     global_buffer
      - .offset:         16
        .size:           8
        .value_kind:     by_value
      - .offset:         24
        .size:           8
        .value_kind:     by_value
      - .offset:         32
        .size:           8
        .value_kind:     by_value
      - .offset:         40
        .size:           8
        .value_kind:     by_value
      - .offset:         48
        .size:           8
        .value_kind:     by_value
      - .offset:         56
        .size:           8
        .value_kind:     by_value
      - .offset:         64
        .size:           8
        .value_kind:     by_value
      - .offset:         72
        .size:           8
        .value_kind:     by_value
      - .offset:         80
        .size:           8
        .value_kind:     by_value
      - .offset:         88
        .size:           8
        .value_kind:     by_value
      - .offset:         96
        .size:           8
        .value_kind:     by_value
      - .offset:         104
        .size:           8
        .value_kind:     by_value
      - .offset:         112
        .size:           8
        .value_kind:     by_value
      - .offset:         120
        .size:           8
        .value_kind:     by_value
      - .offset:         128
        .size:           8
        .value_kind:     by_value
      - .offset:         136
        .size:           8
        .value_kind:     by_value
      - .offset:         144
        .size:           8
        .value_kind:     by_value
      - .offset:         152
        .size:           8
        .value_kind:     by_value
      - .offset:         160
        .size:           8
        .value_kind:     by_value
      - .offset:         168
        .size:           8
        .value_kind:     by_value
      - .offset:         176
        .size:           8
        .value_kind:     by_value
      - .offset:         184
        .size:           8
        .value_kind:     by_value
      - .offset:         192
        .size:           8
        .value_kind:     by_value
      - .offset:         200
        .size:           8
        .value_kind:     by_value
      - .offset:         208
        .size:           8
        .value_kind:     by_value
      - .offset:         216
        .size:           8
        .value_kind:     by_value
      - .offset:         224
        .size:           8
        .value_kind:     by_value
      - .offset:         232
        .size:           8
        .value_kind:     by_value
      - .offset:         240
        .size:           8
        .value_kind:     by_value
      - .offset:         248
        .size:           4
        .value_kind:     by_value
      - .offset:         252
        .size:           4
        .value_kind:     by_value
      - .offset:         256
        .size:           4
        .value_kind:     by_value
      - .offset:         260
        .size:           4
        .value_kind:     by_value
      - .offset:         264
        .size:           4
        .value_kind:     by_value
      - .offset:         268
        .size:           4
        .value_kind:     by_value
      - .offset:         272
        .size:           4
        .value_kind:     by_value
      - .offset:         276
        .size:           4
        .value_kind:     by_value
      - .offset:         280
        .size:           4
        .value_kind:     by_value
      - .offset:         288
        .size:           4
        .value_kind:     hidden_block_count_x
      - .offset:         292
        .size:           4
        .value_kind:     hidden_block_count_y
      - .offset:         296
        .size:           4
        .value_kind:     hidden_block_count_z
      - .offset:         300
        .size:           2
        .value_kind:     hidden_group_size_x
      - .offset:         302
        .size:           2
        .value_kind:     hidden_group_size_y
      - .offset:         304
        .size:           2
        .value_kind:     hidden_group_size_z
      - .offset:         306
        .size:           2
        .value_kind:     hidden_remainder_x
      - .offset:         308
        .size:           2
        .value_kind:     hidden_remainder_y
      - .offset:         310
        .size:           2
        .value_kind:     hidden_remainder_z
      - .offset:         328
        .size:           8
        .value_kind:     hidden_global_offset_x
      - .offset:         336
        .size:           8
        .value_kind:     hidden_global_offset_y
      - .offset:         344
        .size:           8
        .value_kind:     hidden_global_offset_z
      - .offset:         352
        .size:           2
        .value_kind:     hidden_grid_dims
    .group_segment_fixed_size: 0
    .kernarg_segment_align: 8
    .kernarg_segment_size: 544
    .language:       OpenCL C
    .language_version:
      - 2
      - 0
    .max_flat_workgroup_size: 1024
    .name:           _ZL16im2col_3d_kernelIfEvPKfPT_llllllllllllllllllllllllllllliiiiiiiii
    .private_segment_fixed_size: 0
    .sgpr_count:     76
    .sgpr_spill_count: 0
    .symbol:         _ZL16im2col_3d_kernelIfEvPKfPT_llllllllllllllllllllllllllllliiiiiiiii.kd
    .uniform_work_group_size: 1
    .uses_dynamic_stack: false
    .vgpr_count:     26
    .vgpr_spill_count: 0
    .wavefront_size: 32
amdhsa.target:   amdgcn-amd-amdhsa--gfx1250
amdhsa.version:
  - 1
  - 2
...

	.end_amdgpu_metadata
